;; amdgpu-corpus repo=ROCm/rocm-examples kind=compiled arch=gfx1250 opt=O3
	.amdgcn_target "amdgcn-amd-amdhsa--gfx1250"
	.amdhsa_code_object_version 6
	.text
	.protected	_Z19apply_source_kernel10FDTD_SetupPff ; -- Begin function _Z19apply_source_kernel10FDTD_SetupPff
	.globl	_Z19apply_source_kernel10FDTD_SetupPff
	.p2align	8
	.type	_Z19apply_source_kernel10FDTD_SetupPff,@function
_Z19apply_source_kernel10FDTD_SetupPff: ; @_Z19apply_source_kernel10FDTD_SetupPff
; %bb.0:
	s_bfe_u32 s2, ttmp6, 0x4000c
	s_and_b32 s3, ttmp6, 15
	s_add_co_i32 s2, s2, 1
	s_getreg_b32 s4, hwreg(HW_REG_IB_STS2, 6, 4)
	s_mul_i32 s2, ttmp9, s2
	s_delay_alu instid0(SALU_CYCLE_1) | instskip(SKIP_2) | instid1(SALU_CYCLE_1)
	s_add_co_i32 s3, s3, s2
	s_cmp_eq_u32 s4, 0
	s_cselect_b32 s2, ttmp9, s3
	v_or_b32_e32 v0, s2, v0
	s_mov_b32 s2, exec_lo
	s_delay_alu instid0(VALU_DEP_1)
	v_cmpx_eq_u32_e32 0, v0
	s_cbranch_execz .LBB0_2
; %bb.1:
	s_clause 0x2
	s_load_b64 s[2:3], s[0:1], 0x0
	s_load_b96 s[4:6], s[0:1], 0x20
	s_load_b96 s[8:10], s[0:1], 0x40
	s_wait_kmcnt 0x0
	s_mul_i32 s0, s3, s6
	s_delay_alu instid0(SALU_CYCLE_1) | instskip(NEXT) | instid1(SALU_CYCLE_1)
	s_add_co_i32 s0, s0, s5
	s_mul_i32 s0, s0, s2
	s_delay_alu instid0(SALU_CYCLE_1) | instskip(SKIP_3) | instid1(SALU_CYCLE_3)
	s_add_co_i32 s0, s0, s4
	s_load_b32 s1, s[8:9], s0 offset:0x0 scale_offset
	s_wait_kmcnt 0x0
	s_add_f32 s1, s10, s1
	v_dual_mov_b32 v0, s0 :: v_dual_mov_b32 v1, s1
	global_store_b32 v0, v1, s[8:9] scale_offset
.LBB0_2:
	s_endpgm
	.section	.rodata,"a",@progbits
	.p2align	6, 0x0
	.amdhsa_kernel _Z19apply_source_kernel10FDTD_SetupPff
		.amdhsa_group_segment_fixed_size 0
		.amdhsa_private_segment_fixed_size 0
		.amdhsa_kernarg_size 76
		.amdhsa_user_sgpr_count 2
		.amdhsa_user_sgpr_dispatch_ptr 0
		.amdhsa_user_sgpr_queue_ptr 0
		.amdhsa_user_sgpr_kernarg_segment_ptr 1
		.amdhsa_user_sgpr_dispatch_id 0
		.amdhsa_user_sgpr_kernarg_preload_length 0
		.amdhsa_user_sgpr_kernarg_preload_offset 0
		.amdhsa_user_sgpr_private_segment_size 0
		.amdhsa_wavefront_size32 1
		.amdhsa_uses_dynamic_stack 0
		.amdhsa_enable_private_segment 0
		.amdhsa_system_sgpr_workgroup_id_x 1
		.amdhsa_system_sgpr_workgroup_id_y 0
		.amdhsa_system_sgpr_workgroup_id_z 0
		.amdhsa_system_sgpr_workgroup_info 0
		.amdhsa_system_vgpr_workitem_id 0
		.amdhsa_next_free_vgpr 2
		.amdhsa_next_free_sgpr 11
		.amdhsa_named_barrier_count 0
		.amdhsa_reserve_vcc 0
		.amdhsa_float_round_mode_32 0
		.amdhsa_float_round_mode_16_64 0
		.amdhsa_float_denorm_mode_32 3
		.amdhsa_float_denorm_mode_16_64 3
		.amdhsa_fp16_overflow 0
		.amdhsa_memory_ordered 1
		.amdhsa_forward_progress 1
		.amdhsa_inst_pref_size 2
		.amdhsa_round_robin_scheduling 0
		.amdhsa_exception_fp_ieee_invalid_op 0
		.amdhsa_exception_fp_denorm_src 0
		.amdhsa_exception_fp_ieee_div_zero 0
		.amdhsa_exception_fp_ieee_overflow 0
		.amdhsa_exception_fp_ieee_underflow 0
		.amdhsa_exception_fp_ieee_inexact 0
		.amdhsa_exception_int_div_zero 0
	.end_amdhsa_kernel
	.text
.Lfunc_end0:
	.size	_Z19apply_source_kernel10FDTD_SetupPff, .Lfunc_end0-_Z19apply_source_kernel10FDTD_SetupPff
                                        ; -- End function
	.set _Z19apply_source_kernel10FDTD_SetupPff.num_vgpr, 2
	.set _Z19apply_source_kernel10FDTD_SetupPff.num_agpr, 0
	.set _Z19apply_source_kernel10FDTD_SetupPff.numbered_sgpr, 11
	.set _Z19apply_source_kernel10FDTD_SetupPff.num_named_barrier, 0
	.set _Z19apply_source_kernel10FDTD_SetupPff.private_seg_size, 0
	.set _Z19apply_source_kernel10FDTD_SetupPff.uses_vcc, 0
	.set _Z19apply_source_kernel10FDTD_SetupPff.uses_flat_scratch, 0
	.set _Z19apply_source_kernel10FDTD_SetupPff.has_dyn_sized_stack, 0
	.set _Z19apply_source_kernel10FDTD_SetupPff.has_recursion, 0
	.set _Z19apply_source_kernel10FDTD_SetupPff.has_indirect_call, 0
	.section	.AMDGPU.csdata,"",@progbits
; Kernel info:
; codeLenInByte = 156
; TotalNumSgprs: 11
; NumVgprs: 2
; ScratchSize: 0
; MemoryBound: 0
; FloatMode: 240
; IeeeMode: 1
; LDSByteSize: 0 bytes/workgroup (compile time only)
; SGPRBlocks: 0
; VGPRBlocks: 0
; NumSGPRsForWavesPerEU: 11
; NumVGPRsForWavesPerEU: 2
; NamedBarCnt: 0
; Occupancy: 16
; WaveLimiterHint : 0
; COMPUTE_PGM_RSRC2:SCRATCH_EN: 0
; COMPUTE_PGM_RSRC2:USER_SGPR: 2
; COMPUTE_PGM_RSRC2:TRAP_HANDLER: 0
; COMPUTE_PGM_RSRC2:TGID_X_EN: 1
; COMPUTE_PGM_RSRC2:TGID_Y_EN: 0
; COMPUTE_PGM_RSRC2:TGID_Z_EN: 0
; COMPUTE_PGM_RSRC2:TIDIG_COMP_CNT: 0
	.text
	.protected	_Z15updateHx_kernel10FDTD_Setup13Medium_ParamsPfPKfS3_ ; -- Begin function _Z15updateHx_kernel10FDTD_Setup13Medium_ParamsPfPKfS3_
	.globl	_Z15updateHx_kernel10FDTD_Setup13Medium_ParamsPfPKfS3_
	.p2align	8
	.type	_Z15updateHx_kernel10FDTD_Setup13Medium_ParamsPfPKfS3_,@function
_Z15updateHx_kernel10FDTD_Setup13Medium_ParamsPfPKfS3_: ; @_Z15updateHx_kernel10FDTD_Setup13Medium_ParamsPfPKfS3_
; %bb.0:
	s_clause 0x1
	s_load_b64 s[2:3], s[0:1], 0xc4
	s_load_b96 s[8:10], s[0:1], 0x0
	s_bfe_u32 s11, ttmp6, 0x40010
	s_bfe_u32 s5, ttmp6, 0x40014
	;; [unrolled: 1-line block ×3, first 2 shown]
	s_and_b32 s7, ttmp7, 0xffff
	s_add_co_i32 s11, s11, 1
	s_lshr_b32 s4, ttmp7, 16
	s_add_co_i32 s5, s5, 1
	s_add_co_i32 s14, s14, 1
	s_bfe_u32 s12, ttmp6, 0x40004
	s_mul_i32 s11, s7, s11
	s_bfe_u32 s6, ttmp6, 0x40008
	s_and_b32 s13, ttmp6, 15
	s_mul_i32 s5, s4, s5
	s_mul_i32 s14, ttmp9, s14
	s_add_co_i32 s12, s12, s11
	s_getreg_b32 s11, hwreg(HW_REG_IB_STS2, 6, 4)
	s_add_co_i32 s6, s6, s5
	s_add_co_i32 s13, s13, s14
	s_wait_kmcnt 0x0
	s_and_b32 s3, s3, 0xffff
	s_lshr_b32 s5, s2, 16
	s_and_b32 s2, s2, 0xffff
	v_and_b32_e32 v1, 0x3ff, v0
	v_bfe_u32 v2, v0, 10, 10
	s_cmp_eq_u32 s11, 0
	v_bfe_u32 v3, v0, 20, 10
	s_cselect_b32 s11, ttmp9, s13
	s_cselect_b32 s7, s7, s12
	v_mad_u32 v0, s11, s2, v1
	v_mad_u32 v1, s7, s5, v2
	s_cselect_b32 s2, s4, s6
	s_delay_alu instid0(SALU_CYCLE_1) | instskip(SKIP_2) | instid1(VALU_DEP_3)
	v_mad_u32 v2, s2, s3, v3
	s_add_co_i32 s2, s9, -1
	s_add_co_i32 s3, s10, -1
	v_cmp_gt_u32_e32 vcc_lo, s8, v0
	s_delay_alu instid0(VALU_DEP_3) | instskip(NEXT) | instid1(VALU_DEP_3)
	v_cmp_gt_u32_e64 s2, s2, v1
	v_cmp_gt_u32_e64 s3, s3, v2
	s_and_b32 s2, vcc_lo, s2
	s_delay_alu instid0(SALU_CYCLE_1) | instskip(NEXT) | instid1(SALU_CYCLE_1)
	s_and_b32 s2, s2, s3
	s_and_saveexec_b32 s3, s2
	s_cbranch_execz .LBB1_2
; %bb.1:
	v_mad_u32 v1, v2, s9, v1
	s_clause 0x1
	s_load_b128 s[4:7], s[0:1], 0xa0
	s_load_b64 s[2:3], s[0:1], 0xb0
	s_delay_alu instid0(VALU_DEP_1) | instskip(NEXT) | instid1(VALU_DEP_1)
	v_mad_u32 v6, v1, s8, v0
	v_dual_add_nc_u32 v1, s9, v1 :: v_dual_add_nc_u32 v5, s8, v6
	s_delay_alu instid0(VALU_DEP_1)
	v_mad_u32 v4, v1, s8, v0
	s_wait_kmcnt 0x0
	s_clause 0x1
	global_load_b32 v0, v6, s[6:7] scale_offset
	global_load_b32 v1, v6, s[2:3] scale_offset
	;; [unrolled: 1-line block ×4, first 2 shown]
	s_wait_xcnt 0x0
	s_clause 0x1
	s_load_b64 s[2:3], s[0:1], 0x40
	s_load_b64 s[6:7], s[0:1], 0x58
	s_wait_kmcnt 0x0
	s_clause 0x2
	global_load_b32 v7, v6, s[2:3] scale_offset
	global_load_b32 v4, v6, s[6:7] scale_offset
	;; [unrolled: 1-line block ×3, first 2 shown]
	s_wait_xcnt 0x2
	s_load_b64 s[2:3], s[0:1], 0x10
	s_wait_loadcnt 0x3
	v_pk_add_f32 v[0:1], v[2:3], v[0:1] neg_lo:[0,1] neg_hi:[0,1]
	s_wait_xcnt 0x0
	s_load_b32 s1, s[0:1], 0x34
	s_wait_kmcnt 0x0
	s_delay_alu instid0(VALU_DEP_1) | instskip(SKIP_2) | instid1(VALU_DEP_3)
	v_div_scale_f32 v2, null, s3, s3, v1
	v_div_scale_f32 v3, null, s2, s2, v0
	v_div_scale_f32 v12, vcc_lo, v1, s3, v1
	v_rcp_f32_e32 v5, v2
	s_delay_alu instid0(VALU_DEP_2) | instskip(NEXT) | instid1(TRANS32_DEP_2)
	v_rcp_f32_e32 v9, v3
	v_fma_f32 v10, -v2, v5, 1.0
	s_delay_alu instid0(TRANS32_DEP_1) | instskip(NEXT) | instid1(VALU_DEP_2)
	v_fma_f32 v11, -v3, v9, 1.0
	v_fmac_f32_e32 v5, v10, v5
	v_div_scale_f32 v10, s0, v0, s2, v0
	s_delay_alu instid0(VALU_DEP_3) | instskip(NEXT) | instid1(VALU_DEP_3)
	v_fmac_f32_e32 v9, v11, v9
	v_mul_f32_e32 v11, v12, v5
	s_delay_alu instid0(VALU_DEP_1) | instskip(NEXT) | instid1(VALU_DEP_3)
	v_fma_f32 v14, -v2, v11, v12
	v_mul_f32_e32 v13, v10, v9
	s_delay_alu instid0(VALU_DEP_2) | instskip(NEXT) | instid1(VALU_DEP_1)
	v_fmac_f32_e32 v11, v14, v5
	v_dual_fma_f32 v15, -v3, v13, v10 :: v_dual_fma_f32 v2, -v2, v11, v12
	s_delay_alu instid0(VALU_DEP_1) | instskip(NEXT) | instid1(VALU_DEP_1)
	v_fmac_f32_e32 v13, v15, v9
	v_fma_f32 v3, -v3, v13, v10
	s_delay_alu instid0(VALU_DEP_3) | instskip(SKIP_2) | instid1(VALU_DEP_3)
	v_div_fmas_f32 v10, v2, v5, v11
	s_mov_b32 vcc_lo, s0
	v_dual_mov_b32 v5, 2.0 :: v_dual_mov_b32 v2, s1
	v_div_fmas_f32 v9, v3, v9, v13
	s_wait_loadcnt 0x2
	v_mul_f32_e32 v3, 0x35a8a9b8, v7
	v_div_fixup_f32 v7, v10, s3, v1
	s_delay_alu instid0(VALU_DEP_3) | instskip(SKIP_1) | instid1(VALU_DEP_3)
	v_div_fixup_f32 v9, v9, s2, v0
	s_wait_loadcnt 0x1
	v_pk_mul_f32 v[0:1], v[2:3], v[4:5]
	s_delay_alu instid0(VALU_DEP_2) | instskip(NEXT) | instid1(VALU_DEP_2)
	v_sub_f32_e32 v2, v9, v7
	v_div_scale_f32 v4, null, v1, v1, v0
	v_div_scale_f32 v12, vcc_lo, v0, v1, v0
	s_delay_alu instid0(VALU_DEP_3) | instskip(NEXT) | instid1(VALU_DEP_3)
	v_div_scale_f32 v5, null, v3, v3, v2
	v_rcp_f32_e32 v7, v4
	s_delay_alu instid0(VALU_DEP_1) | instskip(NEXT) | instid1(TRANS32_DEP_2)
	v_rcp_f32_e32 v9, v5
	v_fma_f32 v10, -v4, v7, 1.0
	s_delay_alu instid0(TRANS32_DEP_1) | instskip(NEXT) | instid1(VALU_DEP_2)
	v_fma_f32 v11, -v5, v9, 1.0
	v_fmac_f32_e32 v7, v10, v7
	v_div_scale_f32 v10, s0, v2, v3, v2
	s_delay_alu instid0(VALU_DEP_2) | instskip(NEXT) | instid1(VALU_DEP_1)
	v_dual_fmac_f32 v9, v11, v9 :: v_dual_mul_f32 v11, v12, v7
	v_fma_f32 v14, -v4, v11, v12
	s_delay_alu instid0(VALU_DEP_1) | instskip(NEXT) | instid1(VALU_DEP_1)
	v_fmac_f32_e32 v11, v14, v7
	v_dual_mul_f32 v13, v10, v9 :: v_dual_fma_f32 v4, -v4, v11, v12
	s_delay_alu instid0(VALU_DEP_1) | instskip(NEXT) | instid1(VALU_DEP_1)
	v_fma_f32 v15, -v5, v13, v10
	v_fmac_f32_e32 v13, v15, v9
	s_delay_alu instid0(VALU_DEP_3) | instskip(SKIP_1) | instid1(VALU_DEP_2)
	v_div_fmas_f32 v4, v4, v7, v11
	s_mov_b32 vcc_lo, s0
	v_fma_f32 v5, -v5, v13, v10
	s_delay_alu instid0(VALU_DEP_2) | instskip(NEXT) | instid1(VALU_DEP_2)
	v_div_fixup_f32 v0, v4, v1, v0
	v_div_fmas_f32 v5, v5, v9, v13
	s_delay_alu instid0(VALU_DEP_1) | instskip(NEXT) | instid1(VALU_DEP_3)
	v_div_fixup_f32 v1, v5, v3, v2
	v_dual_sub_f32 v2, 1.0, v0 :: v_dual_add_f32 v0, 1.0, v0
	s_delay_alu instid0(VALU_DEP_2) | instskip(SKIP_1) | instid1(VALU_DEP_1)
	v_mul_f32_e32 v1, s1, v1
	s_wait_loadcnt 0x0
	v_fma_f32 v1, v8, v2, -v1
	s_delay_alu instid0(VALU_DEP_1) | instskip(NEXT) | instid1(VALU_DEP_1)
	v_div_scale_f32 v2, null, v0, v0, v1
	v_rcp_f32_e32 v3, v2
	v_nop
	s_delay_alu instid0(TRANS32_DEP_1) | instskip(NEXT) | instid1(VALU_DEP_1)
	v_fma_f32 v4, -v2, v3, 1.0
	v_fmac_f32_e32 v3, v4, v3
	v_div_scale_f32 v4, vcc_lo, v1, v0, v1
	s_delay_alu instid0(VALU_DEP_1) | instskip(NEXT) | instid1(VALU_DEP_1)
	v_mul_f32_e32 v5, v4, v3
	v_fma_f32 v7, -v2, v5, v4
	s_delay_alu instid0(VALU_DEP_1) | instskip(NEXT) | instid1(VALU_DEP_1)
	v_fmac_f32_e32 v5, v7, v3
	v_fma_f32 v2, -v2, v5, v4
	s_delay_alu instid0(VALU_DEP_1) | instskip(NEXT) | instid1(VALU_DEP_1)
	v_div_fmas_f32 v2, v2, v3, v5
	v_div_fixup_f32 v0, v2, v0, v1
	global_store_b32 v6, v0, s[4:5] scale_offset
.LBB1_2:
	s_endpgm
	.section	.rodata,"a",@progbits
	.p2align	6, 0x0
	.amdhsa_kernel _Z15updateHx_kernel10FDTD_Setup13Medium_ParamsPfPKfS3_
		.amdhsa_group_segment_fixed_size 0
		.amdhsa_private_segment_fixed_size 0
		.amdhsa_kernarg_size 440
		.amdhsa_user_sgpr_count 2
		.amdhsa_user_sgpr_dispatch_ptr 0
		.amdhsa_user_sgpr_queue_ptr 0
		.amdhsa_user_sgpr_kernarg_segment_ptr 1
		.amdhsa_user_sgpr_dispatch_id 0
		.amdhsa_user_sgpr_kernarg_preload_length 0
		.amdhsa_user_sgpr_kernarg_preload_offset 0
		.amdhsa_user_sgpr_private_segment_size 0
		.amdhsa_wavefront_size32 1
		.amdhsa_uses_dynamic_stack 0
		.amdhsa_enable_private_segment 0
		.amdhsa_system_sgpr_workgroup_id_x 1
		.amdhsa_system_sgpr_workgroup_id_y 1
		.amdhsa_system_sgpr_workgroup_id_z 1
		.amdhsa_system_sgpr_workgroup_info 0
		.amdhsa_system_vgpr_workitem_id 2
		.amdhsa_next_free_vgpr 16
		.amdhsa_next_free_sgpr 15
		.amdhsa_named_barrier_count 0
		.amdhsa_reserve_vcc 1
		.amdhsa_float_round_mode_32 0
		.amdhsa_float_round_mode_16_64 0
		.amdhsa_float_denorm_mode_32 3
		.amdhsa_float_denorm_mode_16_64 3
		.amdhsa_fp16_overflow 0
		.amdhsa_memory_ordered 1
		.amdhsa_forward_progress 1
		.amdhsa_inst_pref_size 9
		.amdhsa_round_robin_scheduling 0
		.amdhsa_exception_fp_ieee_invalid_op 0
		.amdhsa_exception_fp_denorm_src 0
		.amdhsa_exception_fp_ieee_div_zero 0
		.amdhsa_exception_fp_ieee_overflow 0
		.amdhsa_exception_fp_ieee_underflow 0
		.amdhsa_exception_fp_ieee_inexact 0
		.amdhsa_exception_int_div_zero 0
	.end_amdhsa_kernel
	.text
.Lfunc_end1:
	.size	_Z15updateHx_kernel10FDTD_Setup13Medium_ParamsPfPKfS3_, .Lfunc_end1-_Z15updateHx_kernel10FDTD_Setup13Medium_ParamsPfPKfS3_
                                        ; -- End function
	.set _Z15updateHx_kernel10FDTD_Setup13Medium_ParamsPfPKfS3_.num_vgpr, 16
	.set _Z15updateHx_kernel10FDTD_Setup13Medium_ParamsPfPKfS3_.num_agpr, 0
	.set _Z15updateHx_kernel10FDTD_Setup13Medium_ParamsPfPKfS3_.numbered_sgpr, 15
	.set _Z15updateHx_kernel10FDTD_Setup13Medium_ParamsPfPKfS3_.num_named_barrier, 0
	.set _Z15updateHx_kernel10FDTD_Setup13Medium_ParamsPfPKfS3_.private_seg_size, 0
	.set _Z15updateHx_kernel10FDTD_Setup13Medium_ParamsPfPKfS3_.uses_vcc, 1
	.set _Z15updateHx_kernel10FDTD_Setup13Medium_ParamsPfPKfS3_.uses_flat_scratch, 0
	.set _Z15updateHx_kernel10FDTD_Setup13Medium_ParamsPfPKfS3_.has_dyn_sized_stack, 0
	.set _Z15updateHx_kernel10FDTD_Setup13Medium_ParamsPfPKfS3_.has_recursion, 0
	.set _Z15updateHx_kernel10FDTD_Setup13Medium_ParamsPfPKfS3_.has_indirect_call, 0
	.section	.AMDGPU.csdata,"",@progbits
; Kernel info:
; codeLenInByte = 1040
; TotalNumSgprs: 17
; NumVgprs: 16
; ScratchSize: 0
; MemoryBound: 0
; FloatMode: 240
; IeeeMode: 1
; LDSByteSize: 0 bytes/workgroup (compile time only)
; SGPRBlocks: 0
; VGPRBlocks: 0
; NumSGPRsForWavesPerEU: 17
; NumVGPRsForWavesPerEU: 16
; NamedBarCnt: 0
; Occupancy: 16
; WaveLimiterHint : 0
; COMPUTE_PGM_RSRC2:SCRATCH_EN: 0
; COMPUTE_PGM_RSRC2:USER_SGPR: 2
; COMPUTE_PGM_RSRC2:TRAP_HANDLER: 0
; COMPUTE_PGM_RSRC2:TGID_X_EN: 1
; COMPUTE_PGM_RSRC2:TGID_Y_EN: 1
; COMPUTE_PGM_RSRC2:TGID_Z_EN: 1
; COMPUTE_PGM_RSRC2:TIDIG_COMP_CNT: 2
	.text
	.protected	_Z14updateH_kernel10FDTD_SetupPfPKfS2_S0_S0_ffjjjjj ; -- Begin function _Z14updateH_kernel10FDTD_SetupPfPKfS2_S0_S0_ffjjjjj
	.globl	_Z14updateH_kernel10FDTD_SetupPfPKfS2_S0_S0_ffjjjjj
	.p2align	8
	.type	_Z14updateH_kernel10FDTD_SetupPfPKfS2_S0_S0_ffjjjjj,@function
_Z14updateH_kernel10FDTD_SetupPfPKfS2_S0_S0_ffjjjjj: ; @_Z14updateH_kernel10FDTD_SetupPfPKfS2_S0_S0_ffjjjjj
; %bb.0:
	s_clause 0x1
	s_load_b64 s[2:3], s[0:1], 0x94
	s_load_b96 s[4:6], s[0:1], 0x78
	s_bfe_u32 s11, ttmp6, 0x40010
	s_bfe_u32 s8, ttmp6, 0x40014
	;; [unrolled: 1-line block ×3, first 2 shown]
	s_and_b32 s10, ttmp7, 0xffff
	s_add_co_i32 s11, s11, 1
	s_lshr_b32 s7, ttmp7, 16
	s_add_co_i32 s8, s8, 1
	s_add_co_i32 s14, s14, 1
	s_bfe_u32 s12, ttmp6, 0x40004
	s_mul_i32 s11, s10, s11
	s_bfe_u32 s9, ttmp6, 0x40008
	s_and_b32 s13, ttmp6, 15
	s_mul_i32 s8, s7, s8
	s_mul_i32 s14, ttmp9, s14
	s_add_co_i32 s12, s12, s11
	s_getreg_b32 s11, hwreg(HW_REG_IB_STS2, 6, 4)
	s_add_co_i32 s9, s9, s8
	s_add_co_i32 s13, s13, s14
	s_wait_kmcnt 0x0
	s_and_b32 s3, s3, 0xffff
	s_lshr_b32 s8, s2, 16
	s_and_b32 s2, s2, 0xffff
	v_and_b32_e32 v1, 0x3ff, v0
	v_bfe_u32 v2, v0, 10, 10
	s_cmp_eq_u32 s11, 0
	v_bfe_u32 v3, v0, 20, 10
	s_cselect_b32 s11, ttmp9, s13
	s_cselect_b32 s10, s10, s12
	v_mad_u32 v0, s11, s2, v1
	v_mad_u32 v1, s10, s8, v2
	s_cselect_b32 s2, s7, s9
	s_delay_alu instid0(SALU_CYCLE_1) | instskip(NEXT) | instid1(VALU_DEP_3)
	v_mad_u32 v2, s2, s3, v3
	v_cmp_gt_u32_e32 vcc_lo, s4, v0
	s_delay_alu instid0(VALU_DEP_3) | instskip(NEXT) | instid1(VALU_DEP_3)
	v_cmp_gt_u32_e64 s2, s5, v1
	v_cmp_gt_u32_e64 s3, s6, v2
	s_and_b32 s2, vcc_lo, s2
	s_delay_alu instid0(SALU_CYCLE_1) | instskip(NEXT) | instid1(SALU_CYCLE_1)
	s_and_b32 s2, s2, s3
	s_and_saveexec_b32 s3, s2
	s_cbranch_execz .LBB2_2
; %bb.1:
	s_clause 0x3
	s_load_b64 s[2:3], s[0:1], 0x0
	s_load_b32 s16, s[0:1], 0x34
	s_load_b128 s[12:15], s[0:1], 0x68
	s_load_b256 s[4:11], s[0:1], 0x40
	s_wait_kmcnt 0x0
	v_mad_u32 v1, s3, v2, v1
	s_load_b64 s[0:1], s[0:1], 0x60
	s_delay_alu instid0(VALU_DEP_1) | instskip(NEXT) | instid1(VALU_DEP_1)
	v_mad_u32 v6, v1, s2, v0
	v_dual_add_nc_u32 v5, s14, v6 :: v_dual_add_nc_u32 v7, s15, v6
	global_load_b32 v0, v5, s[6:7] scale_offset
	global_load_b32 v1, v7, s[8:9] scale_offset
	s_clause 0x2
	global_load_b32 v2, v6, s[6:7] scale_offset
	global_load_b32 v3, v6, s[8:9] scale_offset
	;; [unrolled: 1-line block ×3, first 2 shown]
	s_wait_kmcnt 0x0
	s_clause 0x1
	global_load_b32 v4, v6, s[0:1] scale_offset
	global_load_b32 v9, v6, s[4:5] scale_offset
	s_wait_loadcnt 0x3
	v_pk_add_f32 v[0:1], v[0:1], v[2:3] neg_lo:[0,1] neg_hi:[0,1]
	s_delay_alu instid0(VALU_DEP_1) | instskip(NEXT) | instid1(VALU_DEP_2)
	v_div_scale_f32 v2, null, s12, s12, v1
	v_div_scale_f32 v3, null, s13, s13, v0
	v_div_scale_f32 v12, vcc_lo, v1, s12, v1
	s_delay_alu instid0(VALU_DEP_3) | instskip(NEXT) | instid1(VALU_DEP_2)
	v_rcp_f32_e32 v5, v2
	v_rcp_f32_e32 v7, v3
	s_delay_alu instid0(TRANS32_DEP_2) | instskip(NEXT) | instid1(TRANS32_DEP_1)
	v_fma_f32 v10, -v2, v5, 1.0
	v_fma_f32 v11, -v3, v7, 1.0
	s_delay_alu instid0(VALU_DEP_1) | instskip(SKIP_2) | instid1(VALU_DEP_1)
	v_dual_fmac_f32 v5, v10, v5 :: v_dual_fmac_f32 v7, v11, v7
	s_wait_xcnt 0x1
	v_div_scale_f32 v10, s0, v0, s13, v0
	v_dual_mul_f32 v11, v12, v5 :: v_dual_mul_f32 v13, v10, v7
	s_delay_alu instid0(VALU_DEP_1) | instskip(NEXT) | instid1(VALU_DEP_1)
	v_dual_fma_f32 v14, -v2, v11, v12 :: v_dual_fma_f32 v15, -v3, v13, v10
	v_dual_fmac_f32 v11, v14, v5 :: v_dual_fmac_f32 v13, v15, v7
	s_delay_alu instid0(VALU_DEP_1) | instskip(NEXT) | instid1(VALU_DEP_1)
	v_dual_fma_f32 v2, -v2, v11, v12 :: v_dual_fma_f32 v3, -v3, v13, v10
	v_div_fmas_f32 v10, v2, v5, v11
	s_mov_b32 vcc_lo, s0
	v_dual_mov_b32 v5, 2.0 :: v_dual_mov_b32 v2, s16
	s_delay_alu instid0(VALU_DEP_3) | instskip(NEXT) | instid1(VALU_DEP_1)
	v_div_fmas_f32 v7, v3, v7, v13
	v_div_fixup_f32 v7, v7, s13, v0
	s_wait_loadcnt 0x2
	v_mul_f32_e32 v3, 0x35a8a9b8, v8
	v_div_fixup_f32 v8, v10, s12, v1
	s_wait_loadcnt 0x1
	s_delay_alu instid0(VALU_DEP_2) | instskip(NEXT) | instid1(VALU_DEP_2)
	v_pk_mul_f32 v[0:1], v[2:3], v[4:5]
	v_sub_f32_e32 v2, v7, v8
	s_delay_alu instid0(VALU_DEP_2) | instskip(NEXT) | instid1(VALU_DEP_2)
	v_div_scale_f32 v4, null, v1, v1, v0
	v_div_scale_f32 v5, null, v3, v3, v2
	v_div_scale_f32 v12, vcc_lo, v0, v1, v0
	s_delay_alu instid0(VALU_DEP_3) | instskip(NEXT) | instid1(VALU_DEP_2)
	v_rcp_f32_e32 v7, v4
	v_rcp_f32_e32 v8, v5
	s_delay_alu instid0(TRANS32_DEP_2) | instskip(NEXT) | instid1(TRANS32_DEP_1)
	v_fma_f32 v10, -v4, v7, 1.0
	v_fma_f32 v11, -v5, v8, 1.0
	s_delay_alu instid0(VALU_DEP_1) | instskip(SKIP_1) | instid1(VALU_DEP_1)
	v_dual_fmac_f32 v7, v10, v7 :: v_dual_fmac_f32 v8, v11, v8
	v_div_scale_f32 v10, s0, v2, v3, v2
	v_dual_mul_f32 v11, v12, v7 :: v_dual_mul_f32 v13, v10, v8
	s_delay_alu instid0(VALU_DEP_1) | instskip(NEXT) | instid1(VALU_DEP_1)
	v_dual_fma_f32 v14, -v4, v11, v12 :: v_dual_fma_f32 v15, -v5, v13, v10
	v_dual_fmac_f32 v11, v14, v7 :: v_dual_fmac_f32 v13, v15, v8
	s_delay_alu instid0(VALU_DEP_1) | instskip(NEXT) | instid1(VALU_DEP_1)
	v_dual_fma_f32 v4, -v4, v11, v12 :: v_dual_fma_f32 v5, -v5, v13, v10
	v_div_fmas_f32 v4, v4, v7, v11
	s_mov_b32 vcc_lo, s0
	s_delay_alu instid0(VALU_DEP_2) | instskip(NEXT) | instid1(VALU_DEP_2)
	v_div_fmas_f32 v5, v5, v8, v13
	v_div_fixup_f32 v0, v4, v1, v0
	s_delay_alu instid0(VALU_DEP_2) | instskip(NEXT) | instid1(VALU_DEP_1)
	v_div_fixup_f32 v1, v5, v3, v2
	v_dual_sub_f32 v2, 1.0, v0 :: v_dual_mul_f32 v1, s16, v1
	s_wait_loadcnt 0x0
	s_delay_alu instid0(VALU_DEP_1) | instskip(NEXT) | instid1(VALU_DEP_1)
	v_dual_add_f32 v0, 1.0, v0 :: v_dual_fma_f32 v1, v9, v2, -v1
	v_div_scale_f32 v2, null, v0, v0, v1
	s_delay_alu instid0(VALU_DEP_1) | instskip(SKIP_1) | instid1(TRANS32_DEP_1)
	v_rcp_f32_e32 v3, v2
	v_nop
	v_fma_f32 v4, -v2, v3, 1.0
	s_delay_alu instid0(VALU_DEP_1) | instskip(SKIP_1) | instid1(VALU_DEP_1)
	v_fmac_f32_e32 v3, v4, v3
	v_div_scale_f32 v4, vcc_lo, v1, v0, v1
	v_mul_f32_e32 v5, v4, v3
	s_delay_alu instid0(VALU_DEP_1) | instskip(NEXT) | instid1(VALU_DEP_1)
	v_fma_f32 v7, -v2, v5, v4
	v_fmac_f32_e32 v5, v7, v3
	s_delay_alu instid0(VALU_DEP_1) | instskip(NEXT) | instid1(VALU_DEP_1)
	v_fma_f32 v2, -v2, v5, v4
	v_div_fmas_f32 v2, v2, v3, v5
	s_delay_alu instid0(VALU_DEP_1)
	v_div_fixup_f32 v0, v2, v0, v1
	global_store_b32 v6, v0, s[4:5] scale_offset
.LBB2_2:
	s_endpgm
	.section	.rodata,"a",@progbits
	.p2align	6, 0x0
	.amdhsa_kernel _Z14updateH_kernel10FDTD_SetupPfPKfS2_S0_S0_ffjjjjj
		.amdhsa_group_segment_fixed_size 0
		.amdhsa_private_segment_fixed_size 0
		.amdhsa_kernarg_size 392
		.amdhsa_user_sgpr_count 2
		.amdhsa_user_sgpr_dispatch_ptr 0
		.amdhsa_user_sgpr_queue_ptr 0
		.amdhsa_user_sgpr_kernarg_segment_ptr 1
		.amdhsa_user_sgpr_dispatch_id 0
		.amdhsa_user_sgpr_kernarg_preload_length 0
		.amdhsa_user_sgpr_kernarg_preload_offset 0
		.amdhsa_user_sgpr_private_segment_size 0
		.amdhsa_wavefront_size32 1
		.amdhsa_uses_dynamic_stack 0
		.amdhsa_enable_private_segment 0
		.amdhsa_system_sgpr_workgroup_id_x 1
		.amdhsa_system_sgpr_workgroup_id_y 1
		.amdhsa_system_sgpr_workgroup_id_z 1
		.amdhsa_system_sgpr_workgroup_info 0
		.amdhsa_system_vgpr_workitem_id 2
		.amdhsa_next_free_vgpr 16
		.amdhsa_next_free_sgpr 17
		.amdhsa_named_barrier_count 0
		.amdhsa_reserve_vcc 1
		.amdhsa_float_round_mode_32 0
		.amdhsa_float_round_mode_16_64 0
		.amdhsa_float_denorm_mode_32 3
		.amdhsa_float_denorm_mode_16_64 3
		.amdhsa_fp16_overflow 0
		.amdhsa_memory_ordered 1
		.amdhsa_forward_progress 1
		.amdhsa_inst_pref_size 8
		.amdhsa_round_robin_scheduling 0
		.amdhsa_exception_fp_ieee_invalid_op 0
		.amdhsa_exception_fp_denorm_src 0
		.amdhsa_exception_fp_ieee_div_zero 0
		.amdhsa_exception_fp_ieee_overflow 0
		.amdhsa_exception_fp_ieee_underflow 0
		.amdhsa_exception_fp_ieee_inexact 0
		.amdhsa_exception_int_div_zero 0
	.end_amdhsa_kernel
	.text
.Lfunc_end2:
	.size	_Z14updateH_kernel10FDTD_SetupPfPKfS2_S0_S0_ffjjjjj, .Lfunc_end2-_Z14updateH_kernel10FDTD_SetupPfPKfS2_S0_S0_ffjjjjj
                                        ; -- End function
	.set _Z14updateH_kernel10FDTD_SetupPfPKfS2_S0_S0_ffjjjjj.num_vgpr, 16
	.set _Z14updateH_kernel10FDTD_SetupPfPKfS2_S0_S0_ffjjjjj.num_agpr, 0
	.set _Z14updateH_kernel10FDTD_SetupPfPKfS2_S0_S0_ffjjjjj.numbered_sgpr, 17
	.set _Z14updateH_kernel10FDTD_SetupPfPKfS2_S0_S0_ffjjjjj.num_named_barrier, 0
	.set _Z14updateH_kernel10FDTD_SetupPfPKfS2_S0_S0_ffjjjjj.private_seg_size, 0
	.set _Z14updateH_kernel10FDTD_SetupPfPKfS2_S0_S0_ffjjjjj.uses_vcc, 1
	.set _Z14updateH_kernel10FDTD_SetupPfPKfS2_S0_S0_ffjjjjj.uses_flat_scratch, 0
	.set _Z14updateH_kernel10FDTD_SetupPfPKfS2_S0_S0_ffjjjjj.has_dyn_sized_stack, 0
	.set _Z14updateH_kernel10FDTD_SetupPfPKfS2_S0_S0_ffjjjjj.has_recursion, 0
	.set _Z14updateH_kernel10FDTD_SetupPfPKfS2_S0_S0_ffjjjjj.has_indirect_call, 0
	.section	.AMDGPU.csdata,"",@progbits
; Kernel info:
; codeLenInByte = 984
; TotalNumSgprs: 19
; NumVgprs: 16
; ScratchSize: 0
; MemoryBound: 0
; FloatMode: 240
; IeeeMode: 1
; LDSByteSize: 0 bytes/workgroup (compile time only)
; SGPRBlocks: 0
; VGPRBlocks: 0
; NumSGPRsForWavesPerEU: 19
; NumVGPRsForWavesPerEU: 16
; NamedBarCnt: 0
; Occupancy: 16
; WaveLimiterHint : 0
; COMPUTE_PGM_RSRC2:SCRATCH_EN: 0
; COMPUTE_PGM_RSRC2:USER_SGPR: 2
; COMPUTE_PGM_RSRC2:TRAP_HANDLER: 0
; COMPUTE_PGM_RSRC2:TGID_X_EN: 1
; COMPUTE_PGM_RSRC2:TGID_Y_EN: 1
; COMPUTE_PGM_RSRC2:TGID_Z_EN: 1
; COMPUTE_PGM_RSRC2:TIDIG_COMP_CNT: 2
	.text
	.protected	_Z15updateEx_kernel10FDTD_Setup13Medium_ParamsPfPKfS3_ ; -- Begin function _Z15updateEx_kernel10FDTD_Setup13Medium_ParamsPfPKfS3_
	.globl	_Z15updateEx_kernel10FDTD_Setup13Medium_ParamsPfPKfS3_
	.p2align	8
	.type	_Z15updateEx_kernel10FDTD_Setup13Medium_ParamsPfPKfS3_,@function
_Z15updateEx_kernel10FDTD_Setup13Medium_ParamsPfPKfS3_: ; @_Z15updateEx_kernel10FDTD_Setup13Medium_ParamsPfPKfS3_
; %bb.0:
	s_clause 0x1
	s_load_b64 s[2:3], s[0:1], 0xc4
	s_load_b96 s[8:10], s[0:1], 0x0
	s_bfe_u32 s11, ttmp6, 0x40010
	s_bfe_u32 s5, ttmp6, 0x40014
	;; [unrolled: 1-line block ×3, first 2 shown]
	s_and_b32 s7, ttmp7, 0xffff
	s_add_co_i32 s11, s11, 1
	s_lshr_b32 s4, ttmp7, 16
	s_add_co_i32 s5, s5, 1
	s_add_co_i32 s14, s14, 1
	s_bfe_u32 s12, ttmp6, 0x40004
	s_mul_i32 s11, s7, s11
	s_bfe_u32 s6, ttmp6, 0x40008
	s_and_b32 s13, ttmp6, 15
	s_mul_i32 s5, s4, s5
	s_mul_i32 s14, ttmp9, s14
	s_add_co_i32 s12, s12, s11
	s_getreg_b32 s11, hwreg(HW_REG_IB_STS2, 6, 4)
	s_add_co_i32 s6, s6, s5
	s_add_co_i32 s13, s13, s14
	s_wait_kmcnt 0x0
	s_and_b32 s3, s3, 0xffff
	s_lshr_b32 s5, s2, 16
	s_and_b32 s2, s2, 0xffff
	v_and_b32_e32 v1, 0x3ff, v0
	v_bfe_u32 v2, v0, 10, 10
	s_cmp_eq_u32 s11, 0
	v_bfe_u32 v3, v0, 20, 10
	s_cselect_b32 s11, ttmp9, s13
	s_cselect_b32 s7, s7, s12
	v_mad_u32 v0, s11, s2, v1
	v_mad_u32 v1, s7, s5, v2
	s_cselect_b32 s2, s4, s6
	s_delay_alu instid0(SALU_CYCLE_1)
	v_mad_u32 v2, s2, s3, v3
	s_add_co_i32 s2, s8, -1
	s_delay_alu instid0(VALU_DEP_3) | instid1(SALU_CYCLE_1)
	v_cmp_gt_u32_e32 vcc_lo, s2, v0
	s_delay_alu instid0(VALU_DEP_3) | instskip(NEXT) | instid1(VALU_DEP_3)
	v_cmp_gt_u32_e64 s2, s9, v1
	v_cmp_gt_u32_e64 s3, s10, v2
	s_and_b32 s2, vcc_lo, s2
	s_delay_alu instid0(SALU_CYCLE_1) | instskip(NEXT) | instid1(SALU_CYCLE_1)
	s_and_b32 s2, s2, s3
	s_and_saveexec_b32 s3, s2
	s_cbranch_execz .LBB3_2
; %bb.1:
	v_mul_lo_u32 v4, v2, s9
	v_max_i32_e32 v3, 1, v2
	v_add_min_u32_e64 v2, s10, -2, v2
	s_clause 0x1
	s_load_b128 s[4:7], s[0:1], 0xa0
	s_load_b64 s[2:3], s[0:1], 0xb0
	v_dual_add_nc_u32 v3, -1, v3 :: v_dual_max_i32 v5, 1, v1
	v_mad_u32 v2, v2, s9, v1
	s_delay_alu instid0(VALU_DEP_2) | instskip(NEXT) | instid1(VALU_DEP_3)
	v_mad_u32 v3, v3, s9, v1
	v_add3_u32 v5, v5, v4, -1
	v_add_nc_u32_e32 v1, v4, v1
	s_delay_alu instid0(VALU_DEP_2) | instskip(NEXT) | instid1(VALU_DEP_2)
	v_mad_u32 v4, v5, s8, v0
	v_mad_u32 v6, v1, s8, v0
	;; [unrolled: 1-line block ×4, first 2 shown]
	s_wait_kmcnt 0x0
	s_clause 0x1
	global_load_b32 v0, v4, s[6:7] scale_offset
	global_load_b32 v2, v6, s[6:7] scale_offset
	s_clause 0x1
	global_load_b32 v1, v5, s[2:3] scale_offset
	global_load_b32 v3, v7, s[2:3] scale_offset
	s_wait_xcnt 0x0
	s_clause 0x2
	s_load_b64 s[2:3], s[0:1], 0x70
	s_load_b64 s[6:7], s[0:1], 0x88
	s_load_b32 s8, s[0:1], 0x34
	v_mov_b32_e32 v5, 2.0
	s_wait_kmcnt 0x0
	s_clause 0x2
	global_load_b32 v7, v6, s[2:3] scale_offset
	global_load_b32 v4, v6, s[6:7] scale_offset
	;; [unrolled: 1-line block ×3, first 2 shown]
	s_wait_xcnt 0x2
	s_load_b64 s[2:3], s[0:1], 0x10
	s_wait_loadcnt 0x3
	v_pk_add_f32 v[0:1], v[2:3], v[0:1] neg_lo:[0,1] neg_hi:[0,1]
	s_wait_kmcnt 0x0
	s_delay_alu instid0(VALU_DEP_1) | instskip(NEXT) | instid1(VALU_DEP_2)
	v_div_scale_f32 v9, null, s3, s3, v1
	v_div_scale_f32 v10, null, s2, s2, v0
	v_div_scale_f32 v13, vcc_lo, v1, s3, v1
	s_delay_alu instid0(VALU_DEP_3) | instskip(NEXT) | instid1(VALU_DEP_2)
	v_rcp_f32_e32 v11, v9
	v_rcp_f32_e32 v12, v10
	v_div_scale_f32 v14, s0, v0, s2, v0
	s_delay_alu instid0(TRANS32_DEP_2) | instskip(NEXT) | instid1(TRANS32_DEP_1)
	v_fma_f32 v2, -v9, v11, 1.0
	v_fma_f32 v3, -v10, v12, 1.0
	s_delay_alu instid0(VALU_DEP_1) | instskip(NEXT) | instid1(VALU_DEP_1)
	v_dual_fmac_f32 v11, v2, v11 :: v_dual_fmac_f32 v12, v3, v12
	v_dual_mov_b32 v2, s8 :: v_dual_mul_f32 v15, v13, v11
	s_delay_alu instid0(VALU_DEP_1) | instskip(NEXT) | instid1(VALU_DEP_1)
	v_dual_mul_f32 v16, v14, v12 :: v_dual_fma_f32 v3, -v9, v15, v13
	v_dual_fma_f32 v17, -v10, v16, v14 :: v_dual_fmac_f32 v15, v3, v11
	s_wait_loadcnt 0x2
	s_delay_alu instid0(VALU_DEP_1) | instskip(NEXT) | instid1(VALU_DEP_2)
	v_dual_fmac_f32 v16, v17, v12 :: v_dual_mul_f32 v3, 0x2d1bc3b8, v7
	v_fma_f32 v7, -v9, v15, v13
	s_wait_loadcnt 0x1
	s_delay_alu instid0(VALU_DEP_2) | instskip(NEXT) | instid1(VALU_DEP_3)
	v_pk_mul_f32 v[4:5], v[2:3], v[4:5]
	v_fma_f32 v2, -v10, v16, v14
	s_delay_alu instid0(VALU_DEP_3) | instskip(SKIP_1) | instid1(VALU_DEP_3)
	v_div_fmas_f32 v7, v7, v11, v15
	s_mov_b32 vcc_lo, s0
	v_div_scale_f32 v9, null, v5, v5, v4
	s_delay_alu instid0(VALU_DEP_3) | instskip(NEXT) | instid1(VALU_DEP_3)
	v_div_fmas_f32 v2, v2, v12, v16
	v_div_fixup_f32 v1, v7, s3, v1
	v_div_scale_f32 v10, vcc_lo, v4, v5, v4
	s_delay_alu instid0(VALU_DEP_3) | instskip(SKIP_1) | instid1(VALU_DEP_1)
	v_div_fixup_f32 v0, v2, s2, v0
	v_rcp_f32_e32 v2, v9
	v_sub_f32_e32 v0, v0, v1
	s_delay_alu instid0(TRANS32_DEP_1) | instskip(NEXT) | instid1(VALU_DEP_2)
	v_fma_f32 v1, -v9, v2, 1.0
	v_div_scale_f32 v7, null, v3, v3, v0
	v_div_scale_f32 v14, s0, v0, v3, v0
	s_delay_alu instid0(VALU_DEP_3) | instskip(NEXT) | instid1(VALU_DEP_3)
	v_fmac_f32_e32 v2, v1, v2
	v_rcp_f32_e32 v1, v7
	v_nop
	s_delay_alu instid0(TRANS32_DEP_1) | instskip(NEXT) | instid1(VALU_DEP_1)
	v_fma_f32 v12, -v7, v1, 1.0
	v_fmac_f32_e32 v1, v12, v1
	s_delay_alu instid0(VALU_DEP_1) | instskip(SKIP_1) | instid1(VALU_DEP_1)
	v_mul_f32_e32 v12, v14, v1
	v_mul_f32_e32 v11, v10, v2
	v_fma_f32 v13, -v9, v11, v10
	s_delay_alu instid0(VALU_DEP_1) | instskip(NEXT) | instid1(VALU_DEP_1)
	v_fmac_f32_e32 v11, v13, v2
	v_fma_f32 v9, -v9, v11, v10
	v_fma_f32 v10, -v7, v12, v14
	s_delay_alu instid0(VALU_DEP_1) | instskip(NEXT) | instid1(VALU_DEP_3)
	v_fmac_f32_e32 v12, v10, v1
	v_div_fmas_f32 v2, v9, v2, v11
	s_mov_b32 vcc_lo, s0
	s_delay_alu instid0(VALU_DEP_1) | instskip(NEXT) | instid1(VALU_DEP_1)
	v_div_fixup_f32 v2, v2, v5, v4
	v_dual_fma_f32 v4, -v7, v12, v14 :: v_dual_sub_f32 v5, 1.0, v2
	s_delay_alu instid0(VALU_DEP_1) | instskip(SKIP_1) | instid1(VALU_DEP_2)
	v_div_fmas_f32 v1, v4, v1, v12
	s_wait_loadcnt 0x0
	v_mul_f32_e32 v4, v8, v5
	s_delay_alu instid0(VALU_DEP_2) | instskip(NEXT) | instid1(VALU_DEP_1)
	v_div_fixup_f32 v0, v1, v3, v0
	v_dual_add_f32 v1, 1.0, v2 :: v_dual_fmac_f32 v4, s8, v0
	s_delay_alu instid0(VALU_DEP_1) | instskip(NEXT) | instid1(VALU_DEP_1)
	v_div_scale_f32 v0, null, v1, v1, v4
	v_rcp_f32_e32 v2, v0
	v_nop
	s_delay_alu instid0(TRANS32_DEP_1) | instskip(NEXT) | instid1(VALU_DEP_1)
	v_fma_f32 v3, -v0, v2, 1.0
	v_fmac_f32_e32 v2, v3, v2
	v_div_scale_f32 v3, vcc_lo, v4, v1, v4
	s_delay_alu instid0(VALU_DEP_1) | instskip(NEXT) | instid1(VALU_DEP_1)
	v_mul_f32_e32 v5, v3, v2
	v_fma_f32 v7, -v0, v5, v3
	s_delay_alu instid0(VALU_DEP_1) | instskip(NEXT) | instid1(VALU_DEP_1)
	v_fmac_f32_e32 v5, v7, v2
	v_fma_f32 v0, -v0, v5, v3
	s_delay_alu instid0(VALU_DEP_1) | instskip(NEXT) | instid1(VALU_DEP_1)
	v_div_fmas_f32 v0, v0, v2, v5
	v_div_fixup_f32 v0, v0, v1, v4
	global_store_b32 v6, v0, s[4:5] scale_offset
.LBB3_2:
	s_endpgm
	.section	.rodata,"a",@progbits
	.p2align	6, 0x0
	.amdhsa_kernel _Z15updateEx_kernel10FDTD_Setup13Medium_ParamsPfPKfS3_
		.amdhsa_group_segment_fixed_size 0
		.amdhsa_private_segment_fixed_size 0
		.amdhsa_kernarg_size 440
		.amdhsa_user_sgpr_count 2
		.amdhsa_user_sgpr_dispatch_ptr 0
		.amdhsa_user_sgpr_queue_ptr 0
		.amdhsa_user_sgpr_kernarg_segment_ptr 1
		.amdhsa_user_sgpr_dispatch_id 0
		.amdhsa_user_sgpr_kernarg_preload_length 0
		.amdhsa_user_sgpr_kernarg_preload_offset 0
		.amdhsa_user_sgpr_private_segment_size 0
		.amdhsa_wavefront_size32 1
		.amdhsa_uses_dynamic_stack 0
		.amdhsa_enable_private_segment 0
		.amdhsa_system_sgpr_workgroup_id_x 1
		.amdhsa_system_sgpr_workgroup_id_y 1
		.amdhsa_system_sgpr_workgroup_id_z 1
		.amdhsa_system_sgpr_workgroup_info 0
		.amdhsa_system_vgpr_workitem_id 2
		.amdhsa_next_free_vgpr 18
		.amdhsa_next_free_sgpr 15
		.amdhsa_named_barrier_count 0
		.amdhsa_reserve_vcc 1
		.amdhsa_float_round_mode_32 0
		.amdhsa_float_round_mode_16_64 0
		.amdhsa_float_denorm_mode_32 3
		.amdhsa_float_denorm_mode_16_64 3
		.amdhsa_fp16_overflow 0
		.amdhsa_memory_ordered 1
		.amdhsa_forward_progress 1
		.amdhsa_inst_pref_size 9
		.amdhsa_round_robin_scheduling 0
		.amdhsa_exception_fp_ieee_invalid_op 0
		.amdhsa_exception_fp_denorm_src 0
		.amdhsa_exception_fp_ieee_div_zero 0
		.amdhsa_exception_fp_ieee_overflow 0
		.amdhsa_exception_fp_ieee_underflow 0
		.amdhsa_exception_fp_ieee_inexact 0
		.amdhsa_exception_int_div_zero 0
	.end_amdhsa_kernel
	.text
.Lfunc_end3:
	.size	_Z15updateEx_kernel10FDTD_Setup13Medium_ParamsPfPKfS3_, .Lfunc_end3-_Z15updateEx_kernel10FDTD_Setup13Medium_ParamsPfPKfS3_
                                        ; -- End function
	.set _Z15updateEx_kernel10FDTD_Setup13Medium_ParamsPfPKfS3_.num_vgpr, 18
	.set _Z15updateEx_kernel10FDTD_Setup13Medium_ParamsPfPKfS3_.num_agpr, 0
	.set _Z15updateEx_kernel10FDTD_Setup13Medium_ParamsPfPKfS3_.numbered_sgpr, 15
	.set _Z15updateEx_kernel10FDTD_Setup13Medium_ParamsPfPKfS3_.num_named_barrier, 0
	.set _Z15updateEx_kernel10FDTD_Setup13Medium_ParamsPfPKfS3_.private_seg_size, 0
	.set _Z15updateEx_kernel10FDTD_Setup13Medium_ParamsPfPKfS3_.uses_vcc, 1
	.set _Z15updateEx_kernel10FDTD_Setup13Medium_ParamsPfPKfS3_.uses_flat_scratch, 0
	.set _Z15updateEx_kernel10FDTD_Setup13Medium_ParamsPfPKfS3_.has_dyn_sized_stack, 0
	.set _Z15updateEx_kernel10FDTD_Setup13Medium_ParamsPfPKfS3_.has_recursion, 0
	.set _Z15updateEx_kernel10FDTD_Setup13Medium_ParamsPfPKfS3_.has_indirect_call, 0
	.section	.AMDGPU.csdata,"",@progbits
; Kernel info:
; codeLenInByte = 1088
; TotalNumSgprs: 17
; NumVgprs: 18
; ScratchSize: 0
; MemoryBound: 0
; FloatMode: 240
; IeeeMode: 1
; LDSByteSize: 0 bytes/workgroup (compile time only)
; SGPRBlocks: 0
; VGPRBlocks: 1
; NumSGPRsForWavesPerEU: 17
; NumVGPRsForWavesPerEU: 18
; NamedBarCnt: 0
; Occupancy: 16
; WaveLimiterHint : 0
; COMPUTE_PGM_RSRC2:SCRATCH_EN: 0
; COMPUTE_PGM_RSRC2:USER_SGPR: 2
; COMPUTE_PGM_RSRC2:TRAP_HANDLER: 0
; COMPUTE_PGM_RSRC2:TGID_X_EN: 1
; COMPUTE_PGM_RSRC2:TGID_Y_EN: 1
; COMPUTE_PGM_RSRC2:TGID_Z_EN: 1
; COMPUTE_PGM_RSRC2:TIDIG_COMP_CNT: 2
	.text
	.protected	_Z15updateEy_kernel10FDTD_Setup13Medium_ParamsPfPKfS3_ ; -- Begin function _Z15updateEy_kernel10FDTD_Setup13Medium_ParamsPfPKfS3_
	.globl	_Z15updateEy_kernel10FDTD_Setup13Medium_ParamsPfPKfS3_
	.p2align	8
	.type	_Z15updateEy_kernel10FDTD_Setup13Medium_ParamsPfPKfS3_,@function
_Z15updateEy_kernel10FDTD_Setup13Medium_ParamsPfPKfS3_: ; @_Z15updateEy_kernel10FDTD_Setup13Medium_ParamsPfPKfS3_
; %bb.0:
	s_clause 0x1
	s_load_b64 s[2:3], s[0:1], 0xc4
	s_load_b128 s[4:7], s[0:1], 0x0
	s_bfe_u32 s12, ttmp6, 0x40010
	s_bfe_u32 s9, ttmp6, 0x40014
	;; [unrolled: 1-line block ×3, first 2 shown]
	s_and_b32 s11, ttmp7, 0xffff
	s_add_co_i32 s12, s12, 1
	s_lshr_b32 s8, ttmp7, 16
	s_add_co_i32 s9, s9, 1
	s_add_co_i32 s15, s15, 1
	s_bfe_u32 s13, ttmp6, 0x40004
	s_mul_i32 s12, s11, s12
	s_bfe_u32 s10, ttmp6, 0x40008
	s_and_b32 s14, ttmp6, 15
	s_mul_i32 s9, s8, s9
	s_mul_i32 s15, ttmp9, s15
	s_add_co_i32 s13, s13, s12
	s_getreg_b32 s12, hwreg(HW_REG_IB_STS2, 6, 4)
	s_add_co_i32 s10, s10, s9
	s_add_co_i32 s14, s14, s15
	s_wait_kmcnt 0x0
	s_and_b32 s3, s3, 0xffff
	s_lshr_b32 s9, s2, 16
	s_and_b32 s2, s2, 0xffff
	v_bfe_u32 v1, v0, 10, 10
	v_bfe_u32 v2, v0, 20, 10
	s_cmp_eq_u32 s12, 0
	v_and_b32_e32 v0, 0x3ff, v0
	s_cselect_b32 s11, s11, s13
	s_cselect_b32 s8, s8, s10
	s_cselect_b32 s12, ttmp9, s14
	v_mad_u32 v1, s11, s9, v1
	v_mad_u32 v2, s8, s3, v2
	v_mad_u32 v0, s12, s2, v0
	s_add_co_i32 s2, s5, -1
	s_delay_alu instid0(VALU_DEP_3) | instid1(SALU_CYCLE_1)
	v_cmp_gt_u32_e32 vcc_lo, s2, v1
	s_delay_alu instid0(VALU_DEP_3) | instskip(NEXT) | instid1(VALU_DEP_3)
	v_cmp_gt_u32_e64 s2, s6, v2
	v_cmp_gt_u32_e64 s3, s4, v0
	s_and_b32 s2, vcc_lo, s2
	s_delay_alu instid0(SALU_CYCLE_1) | instskip(NEXT) | instid1(SALU_CYCLE_1)
	s_and_b32 s2, s3, s2
	s_and_saveexec_b32 s3, s2
	s_cbranch_execz .LBB4_2
; %bb.1:
	v_mad_u32 v4, v2, s5, v1
	s_clause 0x1
	s_load_b64 s[2:3], s[0:1], 0xb0
	s_load_b128 s[8:11], s[0:1], 0xa0
	s_delay_alu instid0(VALU_DEP_1) | instskip(SKIP_4) | instid1(VALU_DEP_2)
	v_mul_lo_u32 v6, v4, s4
	v_add_min_u32_e64 v4, s4, -2, v0
	v_max_i32_e32 v3, 1, v2
	v_add_min_u32_e64 v2, s6, -2, v2
	s_load_b32 s6, s[0:1], 0x34
	v_dual_add_nc_u32 v9, v6, v4 :: v_dual_add_nc_u32 v3, -1, v3
	s_delay_alu instid0(VALU_DEP_1) | instskip(NEXT) | instid1(VALU_DEP_3)
	v_mad_u32 v3, v3, s5, v1
	v_mad_u32 v1, v2, s5, v1
	v_max_i32_e32 v2, 1, v0
	s_delay_alu instid0(VALU_DEP_1)
	v_add3_u32 v8, v2, v6, -1
	v_add_nc_u32_e32 v6, v6, v0
	v_mad_u32 v7, v3, s4, v0
	v_mad_u32 v1, v1, s4, v0
	s_wait_kmcnt 0x0
	s_clause 0x1
	global_load_b32 v2, v8, s[2:3] scale_offset
	global_load_b32 v4, v9, s[2:3] scale_offset
	s_clause 0x1
	global_load_b32 v3, v7, s[10:11] scale_offset
	global_load_b32 v5, v1, s[10:11] scale_offset
	s_wait_xcnt 0x2
	s_clause 0x1
	s_load_b64 s[2:3], s[0:1], 0x78
	s_load_b64 s[4:5], s[0:1], 0x90
	s_wait_kmcnt 0x0
	s_clause 0x2
	global_load_b32 v7, v6, s[2:3] scale_offset
	global_load_b32 v0, v6, s[4:5] scale_offset
	;; [unrolled: 1-line block ×3, first 2 shown]
	s_wait_xcnt 0x2
	s_load_b64 s[2:3], s[0:1], 0x10
	s_wait_loadcnt 0x3
	v_pk_add_f32 v[2:3], v[4:5], v[2:3] neg_lo:[0,1] neg_hi:[0,1]
	s_delay_alu instid0(VALU_DEP_1) | instskip(SKIP_1) | instid1(VALU_DEP_2)
	v_div_scale_f32 v1, null, s7, s7, v2
	s_wait_kmcnt 0x0
	v_div_scale_f32 v4, null, s3, s3, v3
	v_div_scale_f32 v12, vcc_lo, v2, s7, v2
	s_delay_alu instid0(VALU_DEP_3) | instskip(NEXT) | instid1(VALU_DEP_2)
	v_rcp_f32_e32 v5, v1
	v_rcp_f32_e32 v9, v4
	s_delay_alu instid0(TRANS32_DEP_2) | instskip(NEXT) | instid1(TRANS32_DEP_1)
	v_fma_f32 v10, -v1, v5, 1.0
	v_fma_f32 v11, -v4, v9, 1.0
	s_delay_alu instid0(VALU_DEP_2) | instskip(NEXT) | instid1(VALU_DEP_2)
	v_fmac_f32_e32 v5, v10, v5
	v_fmac_f32_e32 v9, v11, v9
	v_div_scale_f32 v10, s0, v3, s3, v3
	s_delay_alu instid0(VALU_DEP_3) | instskip(NEXT) | instid1(VALU_DEP_1)
	v_mul_f32_e32 v11, v12, v5
	v_fma_f32 v14, -v1, v11, v12
	s_delay_alu instid0(VALU_DEP_1) | instskip(NEXT) | instid1(VALU_DEP_1)
	v_fmac_f32_e32 v11, v14, v5
	v_dual_mul_f32 v13, v10, v9 :: v_dual_fma_f32 v1, -v1, v11, v12
	s_delay_alu instid0(VALU_DEP_1) | instskip(NEXT) | instid1(VALU_DEP_1)
	v_fma_f32 v15, -v4, v13, v10
	v_fmac_f32_e32 v13, v15, v9
	s_delay_alu instid0(VALU_DEP_1) | instskip(NEXT) | instid1(VALU_DEP_4)
	v_fma_f32 v4, -v4, v13, v10
	v_div_fmas_f32 v10, v1, v5, v11
	s_mov_b32 vcc_lo, s0
	v_mov_b32_e32 v1, 2.0
	s_delay_alu instid0(VALU_DEP_3) | instskip(SKIP_2) | instid1(VALU_DEP_3)
	v_div_fmas_f32 v9, v4, v9, v13
	v_mov_b32_e32 v4, s6
	v_div_fixup_f32 v2, v10, s7, v2
	v_div_fixup_f32 v3, v9, s3, v3
	s_wait_loadcnt 0x2
	s_delay_alu instid0(VALU_DEP_1) | instskip(SKIP_1) | instid1(VALU_DEP_1)
	v_dual_mul_f32 v5, 0x2d1bc3b8, v7 :: v_dual_sub_f32 v2, v3, v2
	s_wait_loadcnt 0x1
	v_pk_mul_f32 v[0:1], v[4:5], v[0:1]
	s_delay_alu instid0(VALU_DEP_2) | instskip(NEXT) | instid1(VALU_DEP_2)
	v_div_scale_f32 v4, null, v5, v5, v2
	v_div_scale_f32 v3, null, v1, v1, v0
	v_div_scale_f32 v12, vcc_lo, v0, v1, v0
	s_delay_alu instid0(VALU_DEP_3) | instskip(NEXT) | instid1(VALU_DEP_2)
	v_rcp_f32_e32 v9, v4
	v_rcp_f32_e32 v7, v3
	s_delay_alu instid0(TRANS32_DEP_2) | instskip(NEXT) | instid1(TRANS32_DEP_1)
	v_fma_f32 v11, -v4, v9, 1.0
	v_fma_f32 v10, -v3, v7, 1.0
	s_delay_alu instid0(VALU_DEP_1) | instskip(SKIP_1) | instid1(VALU_DEP_2)
	v_fmac_f32_e32 v7, v10, v7
	v_div_scale_f32 v10, s0, v2, v5, v2
	v_dual_fmac_f32 v9, v11, v9 :: v_dual_mul_f32 v11, v12, v7
	s_delay_alu instid0(VALU_DEP_1) | instskip(NEXT) | instid1(VALU_DEP_1)
	v_dual_mul_f32 v13, v10, v9 :: v_dual_fma_f32 v14, -v3, v11, v12
	v_dual_fma_f32 v15, -v4, v13, v10 :: v_dual_fmac_f32 v11, v14, v7
	s_delay_alu instid0(VALU_DEP_1) | instskip(NEXT) | instid1(VALU_DEP_1)
	v_fma_f32 v3, -v3, v11, v12
	v_div_fmas_f32 v3, v3, v7, v11
	s_mov_b32 vcc_lo, s0
	s_delay_alu instid0(VALU_DEP_1) | instskip(SKIP_1) | instid1(VALU_DEP_1)
	v_div_fixup_f32 v0, v3, v1, v0
	v_fmac_f32_e32 v13, v15, v9
	v_fma_f32 v4, -v4, v13, v10
	s_delay_alu instid0(VALU_DEP_1) | instskip(NEXT) | instid1(VALU_DEP_1)
	v_div_fmas_f32 v4, v4, v9, v13
	v_div_fixup_f32 v1, v4, v5, v2
	v_dual_sub_f32 v2, 1.0, v0 :: v_dual_add_f32 v0, 1.0, v0
	s_delay_alu instid0(VALU_DEP_2) | instskip(SKIP_1) | instid1(VALU_DEP_1)
	v_mul_f32_e32 v1, s6, v1
	s_wait_loadcnt 0x0
	v_fmac_f32_e32 v1, v2, v8
	s_delay_alu instid0(VALU_DEP_1) | instskip(NEXT) | instid1(VALU_DEP_1)
	v_div_scale_f32 v2, null, v0, v0, v1
	v_rcp_f32_e32 v3, v2
	v_nop
	s_delay_alu instid0(TRANS32_DEP_1) | instskip(NEXT) | instid1(VALU_DEP_1)
	v_fma_f32 v4, -v2, v3, 1.0
	v_fmac_f32_e32 v3, v4, v3
	v_div_scale_f32 v4, vcc_lo, v1, v0, v1
	s_delay_alu instid0(VALU_DEP_1) | instskip(NEXT) | instid1(VALU_DEP_1)
	v_mul_f32_e32 v5, v4, v3
	v_fma_f32 v7, -v2, v5, v4
	s_delay_alu instid0(VALU_DEP_1) | instskip(NEXT) | instid1(VALU_DEP_1)
	v_fmac_f32_e32 v5, v7, v3
	v_fma_f32 v2, -v2, v5, v4
	s_delay_alu instid0(VALU_DEP_1) | instskip(NEXT) | instid1(VALU_DEP_1)
	v_div_fmas_f32 v2, v2, v3, v5
	v_div_fixup_f32 v0, v2, v0, v1
	global_store_b32 v6, v0, s[8:9] scale_offset
.LBB4_2:
	s_endpgm
	.section	.rodata,"a",@progbits
	.p2align	6, 0x0
	.amdhsa_kernel _Z15updateEy_kernel10FDTD_Setup13Medium_ParamsPfPKfS3_
		.amdhsa_group_segment_fixed_size 0
		.amdhsa_private_segment_fixed_size 0
		.amdhsa_kernarg_size 440
		.amdhsa_user_sgpr_count 2
		.amdhsa_user_sgpr_dispatch_ptr 0
		.amdhsa_user_sgpr_queue_ptr 0
		.amdhsa_user_sgpr_kernarg_segment_ptr 1
		.amdhsa_user_sgpr_dispatch_id 0
		.amdhsa_user_sgpr_kernarg_preload_length 0
		.amdhsa_user_sgpr_kernarg_preload_offset 0
		.amdhsa_user_sgpr_private_segment_size 0
		.amdhsa_wavefront_size32 1
		.amdhsa_uses_dynamic_stack 0
		.amdhsa_enable_private_segment 0
		.amdhsa_system_sgpr_workgroup_id_x 1
		.amdhsa_system_sgpr_workgroup_id_y 1
		.amdhsa_system_sgpr_workgroup_id_z 1
		.amdhsa_system_sgpr_workgroup_info 0
		.amdhsa_system_vgpr_workitem_id 2
		.amdhsa_next_free_vgpr 16
		.amdhsa_next_free_sgpr 16
		.amdhsa_named_barrier_count 0
		.amdhsa_reserve_vcc 1
		.amdhsa_float_round_mode_32 0
		.amdhsa_float_round_mode_16_64 0
		.amdhsa_float_denorm_mode_32 3
		.amdhsa_float_denorm_mode_16_64 3
		.amdhsa_fp16_overflow 0
		.amdhsa_memory_ordered 1
		.amdhsa_forward_progress 1
		.amdhsa_inst_pref_size 9
		.amdhsa_round_robin_scheduling 0
		.amdhsa_exception_fp_ieee_invalid_op 0
		.amdhsa_exception_fp_denorm_src 0
		.amdhsa_exception_fp_ieee_div_zero 0
		.amdhsa_exception_fp_ieee_overflow 0
		.amdhsa_exception_fp_ieee_underflow 0
		.amdhsa_exception_fp_ieee_inexact 0
		.amdhsa_exception_int_div_zero 0
	.end_amdhsa_kernel
	.text
.Lfunc_end4:
	.size	_Z15updateEy_kernel10FDTD_Setup13Medium_ParamsPfPKfS3_, .Lfunc_end4-_Z15updateEy_kernel10FDTD_Setup13Medium_ParamsPfPKfS3_
                                        ; -- End function
	.set _Z15updateEy_kernel10FDTD_Setup13Medium_ParamsPfPKfS3_.num_vgpr, 16
	.set _Z15updateEy_kernel10FDTD_Setup13Medium_ParamsPfPKfS3_.num_agpr, 0
	.set _Z15updateEy_kernel10FDTD_Setup13Medium_ParamsPfPKfS3_.numbered_sgpr, 16
	.set _Z15updateEy_kernel10FDTD_Setup13Medium_ParamsPfPKfS3_.num_named_barrier, 0
	.set _Z15updateEy_kernel10FDTD_Setup13Medium_ParamsPfPKfS3_.private_seg_size, 0
	.set _Z15updateEy_kernel10FDTD_Setup13Medium_ParamsPfPKfS3_.uses_vcc, 1
	.set _Z15updateEy_kernel10FDTD_Setup13Medium_ParamsPfPKfS3_.uses_flat_scratch, 0
	.set _Z15updateEy_kernel10FDTD_Setup13Medium_ParamsPfPKfS3_.has_dyn_sized_stack, 0
	.set _Z15updateEy_kernel10FDTD_Setup13Medium_ParamsPfPKfS3_.has_recursion, 0
	.set _Z15updateEy_kernel10FDTD_Setup13Medium_ParamsPfPKfS3_.has_indirect_call, 0
	.section	.AMDGPU.csdata,"",@progbits
; Kernel info:
; codeLenInByte = 1096
; TotalNumSgprs: 18
; NumVgprs: 16
; ScratchSize: 0
; MemoryBound: 0
; FloatMode: 240
; IeeeMode: 1
; LDSByteSize: 0 bytes/workgroup (compile time only)
; SGPRBlocks: 0
; VGPRBlocks: 0
; NumSGPRsForWavesPerEU: 18
; NumVGPRsForWavesPerEU: 16
; NamedBarCnt: 0
; Occupancy: 16
; WaveLimiterHint : 1
; COMPUTE_PGM_RSRC2:SCRATCH_EN: 0
; COMPUTE_PGM_RSRC2:USER_SGPR: 2
; COMPUTE_PGM_RSRC2:TRAP_HANDLER: 0
; COMPUTE_PGM_RSRC2:TGID_X_EN: 1
; COMPUTE_PGM_RSRC2:TGID_Y_EN: 1
; COMPUTE_PGM_RSRC2:TGID_Z_EN: 1
; COMPUTE_PGM_RSRC2:TIDIG_COMP_CNT: 2
	.text
	.protected	_Z15updateEz_kernel10FDTD_Setup13Medium_ParamsPfPKfS3_ ; -- Begin function _Z15updateEz_kernel10FDTD_Setup13Medium_ParamsPfPKfS3_
	.globl	_Z15updateEz_kernel10FDTD_Setup13Medium_ParamsPfPKfS3_
	.p2align	8
	.type	_Z15updateEz_kernel10FDTD_Setup13Medium_ParamsPfPKfS3_,@function
_Z15updateEz_kernel10FDTD_Setup13Medium_ParamsPfPKfS3_: ; @_Z15updateEz_kernel10FDTD_Setup13Medium_ParamsPfPKfS3_
; %bb.0:
	s_clause 0x1
	s_load_b64 s[2:3], s[0:1], 0xc4
	s_load_b96 s[8:10], s[0:1], 0x0
	s_bfe_u32 s11, ttmp6, 0x40010
	s_bfe_u32 s5, ttmp6, 0x40014
	;; [unrolled: 1-line block ×3, first 2 shown]
	s_and_b32 s7, ttmp7, 0xffff
	s_add_co_i32 s11, s11, 1
	s_lshr_b32 s4, ttmp7, 16
	s_add_co_i32 s5, s5, 1
	s_add_co_i32 s14, s14, 1
	s_bfe_u32 s12, ttmp6, 0x40004
	s_mul_i32 s11, s7, s11
	s_bfe_u32 s6, ttmp6, 0x40008
	s_and_b32 s13, ttmp6, 15
	s_mul_i32 s5, s4, s5
	s_mul_i32 s14, ttmp9, s14
	s_add_co_i32 s12, s12, s11
	s_getreg_b32 s11, hwreg(HW_REG_IB_STS2, 6, 4)
	s_add_co_i32 s6, s6, s5
	s_add_co_i32 s13, s13, s14
	s_wait_kmcnt 0x0
	s_and_b32 s3, s3, 0xffff
	s_lshr_b32 s5, s2, 16
	s_and_b32 s2, s2, 0xffff
	v_and_b32_e32 v1, 0x3ff, v0
	v_bfe_u32 v2, v0, 10, 10
	s_cmp_eq_u32 s11, 0
	v_bfe_u32 v3, v0, 20, 10
	s_cselect_b32 s11, ttmp9, s13
	s_cselect_b32 s7, s7, s12
	v_mad_u32 v0, s11, s2, v1
	v_mad_u32 v1, s7, s5, v2
	s_cselect_b32 s2, s4, s6
	s_delay_alu instid0(SALU_CYCLE_1) | instskip(SKIP_1) | instid1(VALU_DEP_3)
	v_mad_u32 v2, s2, s3, v3
	s_add_co_i32 s3, s10, -1
	v_cmp_gt_u32_e32 vcc_lo, s8, v0
	s_delay_alu instid0(VALU_DEP_3) | instskip(NEXT) | instid1(VALU_DEP_3)
	v_cmp_gt_u32_e64 s2, s9, v1
	v_cmp_gt_u32_e64 s3, s3, v2
	s_and_b32 s2, vcc_lo, s2
	s_delay_alu instid0(SALU_CYCLE_1) | instskip(NEXT) | instid1(SALU_CYCLE_1)
	s_and_b32 s2, s2, s3
	s_and_saveexec_b32 s3, s2
	s_cbranch_execz .LBB5_2
; %bb.1:
	v_mul_lo_u32 v2, v2, s9
	v_max_i32_e32 v3, 1, v1
	v_add_min_u32_e64 v4, s9, -2, v1
	s_clause 0x2
	s_load_b64 s[2:3], s[0:1], 0xb0
	s_load_b128 s[4:7], s[0:1], 0xa0
	s_load_b32 s11, s[0:1], 0x34
	s_delay_alu instid0(VALU_DEP_3) | instskip(SKIP_1) | instid1(VALU_DEP_2)
	v_add_nc_u32_e32 v1, v2, v1
	v_add3_u32 v3, v3, v2, -1
	v_mul_lo_u32 v1, v1, s8
	s_delay_alu instid0(VALU_DEP_2) | instskip(SKIP_1) | instid1(VALU_DEP_1)
	v_mad_u32 v6, v3, s8, v0
	v_add_min_u32_e64 v3, s8, -2, v0
	v_dual_add_nc_u32 v2, v2, v4 :: v_dual_add_nc_u32 v9, v1, v3
	s_delay_alu instid0(VALU_DEP_1) | instskip(SKIP_2) | instid1(VALU_DEP_1)
	v_mad_u32 v7, v2, s8, v0
	v_max_i32_e32 v2, 1, v0
	s_load_b96 s[8:10], s[0:1], 0xc
	v_add3_u32 v8, v2, v1, -1
	s_wait_kmcnt 0x0
	s_clause 0x1
	global_load_b32 v3, v6, s[2:3] scale_offset
	global_load_b32 v5, v7, s[2:3] scale_offset
	s_clause 0x1
	global_load_b32 v2, v8, s[6:7] scale_offset
	global_load_b32 v4, v9, s[6:7] scale_offset
	s_wait_xcnt 0x2
	s_clause 0x1
	s_load_b64 s[2:3], s[0:1], 0x80
	s_load_b64 s[6:7], s[0:1], 0x98
	v_add_nc_u32_e32 v6, v1, v0
	s_wait_kmcnt 0x0
	s_clause 0x2
	global_load_b32 v7, v6, s[2:3] scale_offset
	global_load_b32 v0, v6, s[6:7] scale_offset
	;; [unrolled: 1-line block ×3, first 2 shown]
	s_wait_loadcnt 0x3
	v_pk_add_f32 v[2:3], v[4:5], v[2:3] neg_lo:[0,1] neg_hi:[0,1]
	s_delay_alu instid0(VALU_DEP_1) | instskip(NEXT) | instid1(VALU_DEP_2)
	v_div_scale_f32 v1, null, s10, s10, v3
	v_div_scale_f32 v4, null, s8, s8, v2
	v_div_scale_f32 v12, vcc_lo, v3, s10, v3
	s_delay_alu instid0(VALU_DEP_3) | instskip(NEXT) | instid1(VALU_DEP_2)
	v_rcp_f32_e32 v5, v1
	v_rcp_f32_e32 v9, v4
	s_delay_alu instid0(TRANS32_DEP_2) | instskip(NEXT) | instid1(TRANS32_DEP_1)
	v_fma_f32 v10, -v1, v5, 1.0
	v_fma_f32 v11, -v4, v9, 1.0
	s_delay_alu instid0(VALU_DEP_2) | instskip(NEXT) | instid1(VALU_DEP_2)
	v_fmac_f32_e32 v5, v10, v5
	v_fmac_f32_e32 v9, v11, v9
	v_div_scale_f32 v10, s0, v2, s8, v2
	s_delay_alu instid0(VALU_DEP_3) | instskip(NEXT) | instid1(VALU_DEP_1)
	v_mul_f32_e32 v11, v12, v5
	v_fma_f32 v14, -v1, v11, v12
	s_delay_alu instid0(VALU_DEP_1) | instskip(NEXT) | instid1(VALU_DEP_1)
	v_fmac_f32_e32 v11, v14, v5
	v_dual_fma_f32 v1, -v1, v11, v12 :: v_dual_mul_f32 v13, v10, v9
	s_delay_alu instid0(VALU_DEP_1) | instskip(NEXT) | instid1(VALU_DEP_1)
	v_fma_f32 v15, -v4, v13, v10
	v_fmac_f32_e32 v13, v15, v9
	s_delay_alu instid0(VALU_DEP_1) | instskip(NEXT) | instid1(VALU_DEP_4)
	v_fma_f32 v4, -v4, v13, v10
	v_div_fmas_f32 v10, v1, v5, v11
	s_mov_b32 vcc_lo, s0
	v_mov_b32_e32 v1, 2.0
	s_wait_loadcnt 0x2
	v_mul_f32_e32 v5, 0x2d1bc3b8, v7
	v_div_fmas_f32 v9, v4, v9, v13
	v_mov_b32_e32 v4, s11
	v_div_fixup_f32 v3, v10, s10, v3
	s_delay_alu instid0(VALU_DEP_3) | instskip(SKIP_1) | instid1(VALU_DEP_3)
	v_div_fixup_f32 v2, v9, s8, v2
	s_wait_loadcnt 0x1
	v_pk_mul_f32 v[0:1], v[4:5], v[0:1]
	s_delay_alu instid0(VALU_DEP_2) | instskip(NEXT) | instid1(VALU_DEP_2)
	v_sub_f32_e32 v2, v2, v3
	v_div_scale_f32 v3, null, v1, v1, v0
	v_div_scale_f32 v12, vcc_lo, v0, v1, v0
	s_delay_alu instid0(VALU_DEP_3) | instskip(NEXT) | instid1(VALU_DEP_3)
	v_div_scale_f32 v4, null, v5, v5, v2
	v_rcp_f32_e32 v7, v3
	s_delay_alu instid0(VALU_DEP_1) | instskip(NEXT) | instid1(TRANS32_DEP_2)
	v_rcp_f32_e32 v9, v4
	v_fma_f32 v10, -v3, v7, 1.0
	s_delay_alu instid0(TRANS32_DEP_1) | instskip(NEXT) | instid1(VALU_DEP_2)
	v_fma_f32 v11, -v4, v9, 1.0
	v_fmac_f32_e32 v7, v10, v7
	v_div_scale_f32 v10, s0, v2, v5, v2
	s_delay_alu instid0(VALU_DEP_2) | instskip(NEXT) | instid1(VALU_DEP_1)
	v_dual_fmac_f32 v9, v11, v9 :: v_dual_mul_f32 v11, v12, v7
	v_dual_mul_f32 v13, v10, v9 :: v_dual_fma_f32 v14, -v3, v11, v12
	s_delay_alu instid0(VALU_DEP_1) | instskip(NEXT) | instid1(VALU_DEP_1)
	v_dual_fma_f32 v15, -v4, v13, v10 :: v_dual_fmac_f32 v11, v14, v7
	v_fmac_f32_e32 v13, v15, v9
	s_delay_alu instid0(VALU_DEP_1) | instskip(NEXT) | instid1(VALU_DEP_1)
	v_dual_fma_f32 v3, -v3, v11, v12 :: v_dual_fma_f32 v4, -v4, v13, v10
	v_div_fmas_f32 v3, v3, v7, v11
	s_mov_b32 vcc_lo, s0
	s_delay_alu instid0(VALU_DEP_2) | instskip(NEXT) | instid1(VALU_DEP_2)
	v_div_fmas_f32 v4, v4, v9, v13
	v_div_fixup_f32 v0, v3, v1, v0
	s_delay_alu instid0(VALU_DEP_2) | instskip(NEXT) | instid1(VALU_DEP_2)
	v_div_fixup_f32 v1, v4, v5, v2
	v_dual_sub_f32 v2, 1.0, v0 :: v_dual_add_f32 v0, 1.0, v0
	s_delay_alu instid0(VALU_DEP_2) | instskip(SKIP_1) | instid1(VALU_DEP_1)
	v_mul_f32_e32 v1, s11, v1
	s_wait_loadcnt 0x0
	v_fmac_f32_e32 v1, v2, v8
	s_delay_alu instid0(VALU_DEP_1) | instskip(NEXT) | instid1(VALU_DEP_1)
	v_div_scale_f32 v2, null, v0, v0, v1
	v_rcp_f32_e32 v3, v2
	v_nop
	s_delay_alu instid0(TRANS32_DEP_1) | instskip(NEXT) | instid1(VALU_DEP_1)
	v_fma_f32 v4, -v2, v3, 1.0
	v_fmac_f32_e32 v3, v4, v3
	v_div_scale_f32 v4, vcc_lo, v1, v0, v1
	s_delay_alu instid0(VALU_DEP_1) | instskip(NEXT) | instid1(VALU_DEP_1)
	v_mul_f32_e32 v5, v4, v3
	v_fma_f32 v7, -v2, v5, v4
	s_delay_alu instid0(VALU_DEP_1) | instskip(NEXT) | instid1(VALU_DEP_1)
	v_fmac_f32_e32 v5, v7, v3
	v_fma_f32 v2, -v2, v5, v4
	s_delay_alu instid0(VALU_DEP_1) | instskip(NEXT) | instid1(VALU_DEP_1)
	v_div_fmas_f32 v2, v2, v3, v5
	v_div_fixup_f32 v0, v2, v0, v1
	global_store_b32 v6, v0, s[4:5] scale_offset
.LBB5_2:
	s_endpgm
	.section	.rodata,"a",@progbits
	.p2align	6, 0x0
	.amdhsa_kernel _Z15updateEz_kernel10FDTD_Setup13Medium_ParamsPfPKfS3_
		.amdhsa_group_segment_fixed_size 0
		.amdhsa_private_segment_fixed_size 0
		.amdhsa_kernarg_size 440
		.amdhsa_user_sgpr_count 2
		.amdhsa_user_sgpr_dispatch_ptr 0
		.amdhsa_user_sgpr_queue_ptr 0
		.amdhsa_user_sgpr_kernarg_segment_ptr 1
		.amdhsa_user_sgpr_dispatch_id 0
		.amdhsa_user_sgpr_kernarg_preload_length 0
		.amdhsa_user_sgpr_kernarg_preload_offset 0
		.amdhsa_user_sgpr_private_segment_size 0
		.amdhsa_wavefront_size32 1
		.amdhsa_uses_dynamic_stack 0
		.amdhsa_enable_private_segment 0
		.amdhsa_system_sgpr_workgroup_id_x 1
		.amdhsa_system_sgpr_workgroup_id_y 1
		.amdhsa_system_sgpr_workgroup_id_z 1
		.amdhsa_system_sgpr_workgroup_info 0
		.amdhsa_system_vgpr_workitem_id 2
		.amdhsa_next_free_vgpr 16
		.amdhsa_next_free_sgpr 15
		.amdhsa_named_barrier_count 0
		.amdhsa_reserve_vcc 1
		.amdhsa_float_round_mode_32 0
		.amdhsa_float_round_mode_16_64 0
		.amdhsa_float_denorm_mode_32 3
		.amdhsa_float_denorm_mode_16_64 3
		.amdhsa_fp16_overflow 0
		.amdhsa_memory_ordered 1
		.amdhsa_forward_progress 1
		.amdhsa_inst_pref_size 9
		.amdhsa_round_robin_scheduling 0
		.amdhsa_exception_fp_ieee_invalid_op 0
		.amdhsa_exception_fp_denorm_src 0
		.amdhsa_exception_fp_ieee_div_zero 0
		.amdhsa_exception_fp_ieee_overflow 0
		.amdhsa_exception_fp_ieee_underflow 0
		.amdhsa_exception_fp_ieee_inexact 0
		.amdhsa_exception_int_div_zero 0
	.end_amdhsa_kernel
	.text
.Lfunc_end5:
	.size	_Z15updateEz_kernel10FDTD_Setup13Medium_ParamsPfPKfS3_, .Lfunc_end5-_Z15updateEz_kernel10FDTD_Setup13Medium_ParamsPfPKfS3_
                                        ; -- End function
	.set _Z15updateEz_kernel10FDTD_Setup13Medium_ParamsPfPKfS3_.num_vgpr, 16
	.set _Z15updateEz_kernel10FDTD_Setup13Medium_ParamsPfPKfS3_.num_agpr, 0
	.set _Z15updateEz_kernel10FDTD_Setup13Medium_ParamsPfPKfS3_.numbered_sgpr, 15
	.set _Z15updateEz_kernel10FDTD_Setup13Medium_ParamsPfPKfS3_.num_named_barrier, 0
	.set _Z15updateEz_kernel10FDTD_Setup13Medium_ParamsPfPKfS3_.private_seg_size, 0
	.set _Z15updateEz_kernel10FDTD_Setup13Medium_ParamsPfPKfS3_.uses_vcc, 1
	.set _Z15updateEz_kernel10FDTD_Setup13Medium_ParamsPfPKfS3_.uses_flat_scratch, 0
	.set _Z15updateEz_kernel10FDTD_Setup13Medium_ParamsPfPKfS3_.has_dyn_sized_stack, 0
	.set _Z15updateEz_kernel10FDTD_Setup13Medium_ParamsPfPKfS3_.has_recursion, 0
	.set _Z15updateEz_kernel10FDTD_Setup13Medium_ParamsPfPKfS3_.has_indirect_call, 0
	.section	.AMDGPU.csdata,"",@progbits
; Kernel info:
; codeLenInByte = 1080
; TotalNumSgprs: 17
; NumVgprs: 16
; ScratchSize: 0
; MemoryBound: 0
; FloatMode: 240
; IeeeMode: 1
; LDSByteSize: 0 bytes/workgroup (compile time only)
; SGPRBlocks: 0
; VGPRBlocks: 0
; NumSGPRsForWavesPerEU: 17
; NumVGPRsForWavesPerEU: 16
; NamedBarCnt: 0
; Occupancy: 16
; WaveLimiterHint : 1
; COMPUTE_PGM_RSRC2:SCRATCH_EN: 0
; COMPUTE_PGM_RSRC2:USER_SGPR: 2
; COMPUTE_PGM_RSRC2:TRAP_HANDLER: 0
; COMPUTE_PGM_RSRC2:TGID_X_EN: 1
; COMPUTE_PGM_RSRC2:TGID_Y_EN: 1
; COMPUTE_PGM_RSRC2:TGID_Z_EN: 1
; COMPUTE_PGM_RSRC2:TIDIG_COMP_CNT: 2
	.text
	.p2alignl 7, 3214868480
	.fill 96, 4, 3214868480
	.section	.AMDGPU.gpr_maximums,"",@progbits
	.set amdgpu.max_num_vgpr, 0
	.set amdgpu.max_num_agpr, 0
	.set amdgpu.max_num_sgpr, 0
	.text
	.type	__hip_cuid_521916c3030c0845,@object ; @__hip_cuid_521916c3030c0845
	.section	.bss,"aw",@nobits
	.globl	__hip_cuid_521916c3030c0845
__hip_cuid_521916c3030c0845:
	.byte	0                               ; 0x0
	.size	__hip_cuid_521916c3030c0845, 1

	.ident	"AMD clang version 22.0.0git (https://github.com/RadeonOpenCompute/llvm-project roc-7.2.4 26084 f58b06dce1f9c15707c5f808fd002e18c2accf7e)"
	.section	".note.GNU-stack","",@progbits
	.addrsig
	.addrsig_sym __hip_cuid_521916c3030c0845
	.amdgpu_metadata
---
amdhsa.kernels:
  - .args:
      - .offset:         0
        .size:           60
        .value_kind:     by_value
      - .address_space:  global
        .offset:         64
        .size:           8
        .value_kind:     global_buffer
      - .offset:         72
        .size:           4
        .value_kind:     by_value
    .group_segment_fixed_size: 0
    .kernarg_segment_align: 8
    .kernarg_segment_size: 76
    .language:       OpenCL C
    .language_version:
      - 2
      - 0
    .max_flat_workgroup_size: 1024
    .name:           _Z19apply_source_kernel10FDTD_SetupPff
    .private_segment_fixed_size: 0
    .sgpr_count:     11
    .sgpr_spill_count: 0
    .symbol:         _Z19apply_source_kernel10FDTD_SetupPff.kd
    .uniform_work_group_size: 1
    .uses_dynamic_stack: false
    .vgpr_count:     2
    .vgpr_spill_count: 0
    .wavefront_size: 32
  - .args:
      - .offset:         0
        .size:           60
        .value_kind:     by_value
      - .offset:         64
        .size:           96
        .value_kind:     by_value
      - .address_space:  global
        .offset:         160
        .size:           8
        .value_kind:     global_buffer
      - .address_space:  global
        .offset:         168
        .size:           8
        .value_kind:     global_buffer
      - .address_space:  global
        .offset:         176
        .size:           8
        .value_kind:     global_buffer
      - .offset:         184
        .size:           4
        .value_kind:     hidden_block_count_x
      - .offset:         188
        .size:           4
        .value_kind:     hidden_block_count_y
      - .offset:         192
        .size:           4
        .value_kind:     hidden_block_count_z
      - .offset:         196
        .size:           2
        .value_kind:     hidden_group_size_x
      - .offset:         198
        .size:           2
        .value_kind:     hidden_group_size_y
      - .offset:         200
        .size:           2
        .value_kind:     hidden_group_size_z
      - .offset:         202
        .size:           2
        .value_kind:     hidden_remainder_x
      - .offset:         204
        .size:           2
        .value_kind:     hidden_remainder_y
      - .offset:         206
        .size:           2
        .value_kind:     hidden_remainder_z
      - .offset:         224
        .size:           8
        .value_kind:     hidden_global_offset_x
      - .offset:         232
        .size:           8
        .value_kind:     hidden_global_offset_y
      - .offset:         240
        .size:           8
        .value_kind:     hidden_global_offset_z
      - .offset:         248
        .size:           2
        .value_kind:     hidden_grid_dims
    .group_segment_fixed_size: 0
    .kernarg_segment_align: 8
    .kernarg_segment_size: 440
    .language:       OpenCL C
    .language_version:
      - 2
      - 0
    .max_flat_workgroup_size: 1024
    .name:           _Z15updateHx_kernel10FDTD_Setup13Medium_ParamsPfPKfS3_
    .private_segment_fixed_size: 0
    .sgpr_count:     17
    .sgpr_spill_count: 0
    .symbol:         _Z15updateHx_kernel10FDTD_Setup13Medium_ParamsPfPKfS3_.kd
    .uniform_work_group_size: 1
    .uses_dynamic_stack: false
    .vgpr_count:     16
    .vgpr_spill_count: 0
    .wavefront_size: 32
  - .args:
      - .offset:         0
        .size:           60
        .value_kind:     by_value
      - .address_space:  global
        .offset:         64
        .size:           8
        .value_kind:     global_buffer
      - .address_space:  global
        .offset:         72
        .size:           8
        .value_kind:     global_buffer
      - .address_space:  global
        .offset:         80
        .size:           8
        .value_kind:     global_buffer
      - .address_space:  global
        .offset:         88
        .size:           8
        .value_kind:     global_buffer
      - .address_space:  global
        .offset:         96
        .size:           8
        .value_kind:     global_buffer
      - .offset:         104
        .size:           4
        .value_kind:     by_value
      - .offset:         108
        .size:           4
        .value_kind:     by_value
      - .offset:         112
        .size:           4
        .value_kind:     by_value
      - .offset:         116
        .size:           4
        .value_kind:     by_value
      - .offset:         120
        .size:           4
        .value_kind:     by_value
      - .offset:         124
        .size:           4
        .value_kind:     by_value
      - .offset:         128
        .size:           4
        .value_kind:     by_value
      - .offset:         136
        .size:           4
        .value_kind:     hidden_block_count_x
      - .offset:         140
        .size:           4
        .value_kind:     hidden_block_count_y
      - .offset:         144
        .size:           4
        .value_kind:     hidden_block_count_z
      - .offset:         148
        .size:           2
        .value_kind:     hidden_group_size_x
      - .offset:         150
        .size:           2
        .value_kind:     hidden_group_size_y
      - .offset:         152
        .size:           2
        .value_kind:     hidden_group_size_z
      - .offset:         154
        .size:           2
        .value_kind:     hidden_remainder_x
      - .offset:         156
        .size:           2
        .value_kind:     hidden_remainder_y
      - .offset:         158
        .size:           2
        .value_kind:     hidden_remainder_z
      - .offset:         176
        .size:           8
        .value_kind:     hidden_global_offset_x
      - .offset:         184
        .size:           8
        .value_kind:     hidden_global_offset_y
      - .offset:         192
        .size:           8
        .value_kind:     hidden_global_offset_z
      - .offset:         200
        .size:           2
        .value_kind:     hidden_grid_dims
    .group_segment_fixed_size: 0
    .kernarg_segment_align: 8
    .kernarg_segment_size: 392
    .language:       OpenCL C
    .language_version:
      - 2
      - 0
    .max_flat_workgroup_size: 1024
    .name:           _Z14updateH_kernel10FDTD_SetupPfPKfS2_S0_S0_ffjjjjj
    .private_segment_fixed_size: 0
    .sgpr_count:     19
    .sgpr_spill_count: 0
    .symbol:         _Z14updateH_kernel10FDTD_SetupPfPKfS2_S0_S0_ffjjjjj.kd
    .uniform_work_group_size: 1
    .uses_dynamic_stack: false
    .vgpr_count:     16
    .vgpr_spill_count: 0
    .wavefront_size: 32
  - .args:
      - .offset:         0
        .size:           60
        .value_kind:     by_value
      - .offset:         64
        .size:           96
        .value_kind:     by_value
      - .address_space:  global
        .offset:         160
        .size:           8
        .value_kind:     global_buffer
      - .address_space:  global
        .offset:         168
        .size:           8
        .value_kind:     global_buffer
      - .address_space:  global
        .offset:         176
        .size:           8
        .value_kind:     global_buffer
      - .offset:         184
        .size:           4
        .value_kind:     hidden_block_count_x
      - .offset:         188
        .size:           4
        .value_kind:     hidden_block_count_y
      - .offset:         192
        .size:           4
        .value_kind:     hidden_block_count_z
      - .offset:         196
        .size:           2
        .value_kind:     hidden_group_size_x
      - .offset:         198
        .size:           2
        .value_kind:     hidden_group_size_y
      - .offset:         200
        .size:           2
        .value_kind:     hidden_group_size_z
      - .offset:         202
        .size:           2
        .value_kind:     hidden_remainder_x
      - .offset:         204
        .size:           2
        .value_kind:     hidden_remainder_y
      - .offset:         206
        .size:           2
        .value_kind:     hidden_remainder_z
      - .offset:         224
        .size:           8
        .value_kind:     hidden_global_offset_x
      - .offset:         232
        .size:           8
        .value_kind:     hidden_global_offset_y
      - .offset:         240
        .size:           8
        .value_kind:     hidden_global_offset_z
      - .offset:         248
        .size:           2
        .value_kind:     hidden_grid_dims
    .group_segment_fixed_size: 0
    .kernarg_segment_align: 8
    .kernarg_segment_size: 440
    .language:       OpenCL C
    .language_version:
      - 2
      - 0
    .max_flat_workgroup_size: 1024
    .name:           _Z15updateEx_kernel10FDTD_Setup13Medium_ParamsPfPKfS3_
    .private_segment_fixed_size: 0
    .sgpr_count:     17
    .sgpr_spill_count: 0
    .symbol:         _Z15updateEx_kernel10FDTD_Setup13Medium_ParamsPfPKfS3_.kd
    .uniform_work_group_size: 1
    .uses_dynamic_stack: false
    .vgpr_count:     18
    .vgpr_spill_count: 0
    .wavefront_size: 32
  - .args:
      - .offset:         0
        .size:           60
        .value_kind:     by_value
      - .offset:         64
        .size:           96
        .value_kind:     by_value
      - .address_space:  global
        .offset:         160
        .size:           8
        .value_kind:     global_buffer
      - .address_space:  global
        .offset:         168
        .size:           8
        .value_kind:     global_buffer
      - .address_space:  global
        .offset:         176
        .size:           8
        .value_kind:     global_buffer
      - .offset:         184
        .size:           4
        .value_kind:     hidden_block_count_x
      - .offset:         188
        .size:           4
        .value_kind:     hidden_block_count_y
      - .offset:         192
        .size:           4
        .value_kind:     hidden_block_count_z
      - .offset:         196
        .size:           2
        .value_kind:     hidden_group_size_x
      - .offset:         198
        .size:           2
        .value_kind:     hidden_group_size_y
      - .offset:         200
        .size:           2
        .value_kind:     hidden_group_size_z
      - .offset:         202
        .size:           2
        .value_kind:     hidden_remainder_x
      - .offset:         204
        .size:           2
        .value_kind:     hidden_remainder_y
      - .offset:         206
        .size:           2
        .value_kind:     hidden_remainder_z
      - .offset:         224
        .size:           8
        .value_kind:     hidden_global_offset_x
      - .offset:         232
        .size:           8
        .value_kind:     hidden_global_offset_y
      - .offset:         240
        .size:           8
        .value_kind:     hidden_global_offset_z
      - .offset:         248
        .size:           2
        .value_kind:     hidden_grid_dims
    .group_segment_fixed_size: 0
    .kernarg_segment_align: 8
    .kernarg_segment_size: 440
    .language:       OpenCL C
    .language_version:
      - 2
      - 0
    .max_flat_workgroup_size: 1024
    .name:           _Z15updateEy_kernel10FDTD_Setup13Medium_ParamsPfPKfS3_
    .private_segment_fixed_size: 0
    .sgpr_count:     18
    .sgpr_spill_count: 0
    .symbol:         _Z15updateEy_kernel10FDTD_Setup13Medium_ParamsPfPKfS3_.kd
    .uniform_work_group_size: 1
    .uses_dynamic_stack: false
    .vgpr_count:     16
    .vgpr_spill_count: 0
    .wavefront_size: 32
  - .args:
      - .offset:         0
        .size:           60
        .value_kind:     by_value
      - .offset:         64
        .size:           96
        .value_kind:     by_value
      - .address_space:  global
        .offset:         160
        .size:           8
        .value_kind:     global_buffer
      - .address_space:  global
        .offset:         168
        .size:           8
        .value_kind:     global_buffer
      - .address_space:  global
        .offset:         176
        .size:           8
        .value_kind:     global_buffer
      - .offset:         184
        .size:           4
        .value_kind:     hidden_block_count_x
      - .offset:         188
        .size:           4
        .value_kind:     hidden_block_count_y
      - .offset:         192
        .size:           4
        .value_kind:     hidden_block_count_z
      - .offset:         196
        .size:           2
        .value_kind:     hidden_group_size_x
      - .offset:         198
        .size:           2
        .value_kind:     hidden_group_size_y
      - .offset:         200
        .size:           2
        .value_kind:     hidden_group_size_z
      - .offset:         202
        .size:           2
        .value_kind:     hidden_remainder_x
      - .offset:         204
        .size:           2
        .value_kind:     hidden_remainder_y
      - .offset:         206
        .size:           2
        .value_kind:     hidden_remainder_z
      - .offset:         224
        .size:           8
        .value_kind:     hidden_global_offset_x
      - .offset:         232
        .size:           8
        .value_kind:     hidden_global_offset_y
      - .offset:         240
        .size:           8
        .value_kind:     hidden_global_offset_z
      - .offset:         248
        .size:           2
        .value_kind:     hidden_grid_dims
    .group_segment_fixed_size: 0
    .kernarg_segment_align: 8
    .kernarg_segment_size: 440
    .language:       OpenCL C
    .language_version:
      - 2
      - 0
    .max_flat_workgroup_size: 1024
    .name:           _Z15updateEz_kernel10FDTD_Setup13Medium_ParamsPfPKfS3_
    .private_segment_fixed_size: 0
    .sgpr_count:     17
    .sgpr_spill_count: 0
    .symbol:         _Z15updateEz_kernel10FDTD_Setup13Medium_ParamsPfPKfS3_.kd
    .uniform_work_group_size: 1
    .uses_dynamic_stack: false
    .vgpr_count:     16
    .vgpr_spill_count: 0
    .wavefront_size: 32
amdhsa.target:   amdgcn-amd-amdhsa--gfx1250
amdhsa.version:
  - 1
  - 2
...

	.end_amdgpu_metadata
